;; amdgpu-corpus repo=ROCm/rocFFT kind=compiled arch=gfx1201 opt=O3
	.text
	.amdgcn_target "amdgcn-amd-amdhsa--gfx1201"
	.amdhsa_code_object_version 6
	.protected	bluestein_single_back_len2916_dim1_sp_op_CI_CI ; -- Begin function bluestein_single_back_len2916_dim1_sp_op_CI_CI
	.globl	bluestein_single_back_len2916_dim1_sp_op_CI_CI
	.p2align	8
	.type	bluestein_single_back_len2916_dim1_sp_op_CI_CI,@function
bluestein_single_back_len2916_dim1_sp_op_CI_CI: ; @bluestein_single_back_len2916_dim1_sp_op_CI_CI
; %bb.0:
	s_load_b128 s[16:19], s[0:1], 0x28
	v_mul_u32_u24_e32 v1, 0x10e, v0
	s_mov_b32 s2, exec_lo
	v_mov_b32_e32 v105, 0
	s_delay_alu instid0(VALU_DEP_2) | instskip(NEXT) | instid1(VALU_DEP_1)
	v_lshrrev_b32_e32 v1, 16, v1
	v_add_nc_u32_e32 v104, ttmp9, v1
	s_wait_kmcnt 0x0
	s_delay_alu instid0(VALU_DEP_1)
	v_cmpx_gt_u64_e64 s[16:17], v[104:105]
	s_cbranch_execz .LBB0_2
; %bb.1:
	s_clause 0x1
	s_load_b128 s[4:7], s[0:1], 0x18
	s_load_b128 s[8:11], s[0:1], 0x0
	v_mul_lo_u16 v1, 0xf3, v1
	s_load_b64 s[0:1], s[0:1], 0x38
	s_delay_alu instid0(VALU_DEP_1) | instskip(NEXT) | instid1(VALU_DEP_1)
	v_sub_nc_u16 v48, v0, v1
	v_and_b32_e32 v110, 0xffff, v48
	s_wait_kmcnt 0x0
	s_load_b128 s[12:15], s[4:5], 0x0
	s_wait_kmcnt 0x0
	v_mad_co_u64_u32 v[0:1], null, s14, v104, 0
	v_mad_co_u64_u32 v[2:3], null, s12, v110, 0
	s_mul_u64 s[2:3], s[12:13], 0xf30
	s_mul_i32 s4, s13, 0xffffbba8
	s_delay_alu instid0(SALU_CYCLE_1) | instskip(NEXT) | instid1(VALU_DEP_1)
	s_sub_co_i32 s4, s4, s12
	v_mad_co_u64_u32 v[4:5], null, s15, v104, v[1:2]
	s_delay_alu instid0(VALU_DEP_1) | instskip(NEXT) | instid1(VALU_DEP_3)
	v_mov_b32_e32 v1, v4
	v_mad_co_u64_u32 v[5:6], null, s13, v110, v[3:4]
	v_add_co_u32 v56, null, 0x1e6, v110
	s_delay_alu instid0(VALU_DEP_3) | instskip(SKIP_1) | instid1(VALU_DEP_4)
	v_lshlrev_b64_e32 v[0:1], 3, v[0:1]
	v_add_co_u32 v72, null, 0x2d9, v110
	v_mov_b32_e32 v3, v5
	s_delay_alu instid0(VALU_DEP_3) | instskip(NEXT) | instid1(VALU_DEP_4)
	v_add_co_u32 v0, vcc_lo, s18, v0
	v_add_co_ci_u32_e32 v1, vcc_lo, s19, v1, vcc_lo
	s_delay_alu instid0(VALU_DEP_3) | instskip(NEXT) | instid1(VALU_DEP_1)
	v_lshlrev_b64_e32 v[2:3], 3, v[2:3]
	v_add_co_u32 v0, vcc_lo, v0, v2
	s_wait_alu 0xfffd
	s_delay_alu instid0(VALU_DEP_2) | instskip(NEXT) | instid1(VALU_DEP_2)
	v_add_co_ci_u32_e32 v1, vcc_lo, v1, v3, vcc_lo
	v_add_co_u32 v2, vcc_lo, v0, s2
	s_wait_alu 0xfffd
	s_delay_alu instid0(VALU_DEP_2)
	v_add_co_ci_u32_e32 v3, vcc_lo, s3, v1, vcc_lo
	global_load_b64 v[0:1], v[0:1], off
	v_lshlrev_b32_e32 v109, 3, v110
	v_add_co_u32 v4, vcc_lo, v2, s2
	s_wait_alu 0xfffd
	v_add_co_ci_u32_e32 v5, vcc_lo, s3, v3, vcc_lo
	s_clause 0x1
	global_load_b64 v[80:81], v109, s[8:9]
	global_load_b64 v[82:83], v109, s[8:9] offset:3888
	global_load_b64 v[2:3], v[2:3], off
	s_clause 0x1
	global_load_b64 v[86:87], v109, s[8:9] offset:7776
	global_load_b64 v[84:85], v109, s[8:9] offset:11664
	v_add_co_u32 v6, vcc_lo, v4, s2
	s_wait_alu 0xfffd
	v_add_co_ci_u32_e32 v7, vcc_lo, s3, v5, vcc_lo
	global_load_b64 v[88:89], v109, s[8:9] offset:15552
	global_load_b64 v[4:5], v[4:5], off
	global_load_b64 v[90:91], v109, s[8:9] offset:19440
	v_add_co_u32 v8, vcc_lo, v6, s2
	s_wait_alu 0xfffd
	v_add_co_ci_u32_e32 v9, vcc_lo, s3, v7, vcc_lo
	global_load_b64 v[6:7], v[6:7], off
	v_add_co_u32 v10, vcc_lo, v8, s2
	s_wait_alu 0xfffd
	v_add_co_ci_u32_e32 v11, vcc_lo, s3, v9, vcc_lo
	global_load_b64 v[8:9], v[8:9], off
	v_mad_co_u64_u32 v[12:13], null, 0xffffbba8, s12, v[10:11]
	s_wait_loadcnt 0x7
	s_delay_alu instid0(VALU_DEP_1)
	v_dual_mul_f32 v30, v2, v83 :: v_dual_add_nc_u32 v13, s4, v13
	s_clause 0x2
	global_load_b64 v[94:95], v109, s[8:9] offset:5832
	global_load_b64 v[96:97], v109, s[8:9] offset:1944
	;; [unrolled: 1-line block ×3, first 2 shown]
	global_load_b64 v[16:17], v[10:11], off
	global_load_b64 v[18:19], v[12:13], off
	v_add_co_u32 v10, vcc_lo, v12, s2
	s_wait_alu 0xfffd
	v_add_co_ci_u32_e32 v11, vcc_lo, s3, v13, vcc_lo
	v_fma_f32 v30, v3, v82, -v30
	s_delay_alu instid0(VALU_DEP_3) | instskip(SKIP_1) | instid1(VALU_DEP_3)
	v_add_co_u32 v12, vcc_lo, v10, s2
	s_wait_alu 0xfffd
	v_add_co_ci_u32_e32 v13, vcc_lo, s3, v11, vcc_lo
	global_load_b64 v[10:11], v[10:11], off
	v_add_co_u32 v14, vcc_lo, v12, s2
	s_wait_alu 0xfffd
	v_add_co_ci_u32_e32 v15, vcc_lo, s3, v13, vcc_lo
	global_load_b64 v[12:13], v[12:13], off
	;; [unrolled: 4-line block ×3, first 2 shown]
	v_add_co_u32 v24, vcc_lo, v20, s2
	v_add_co_u32 v49, s2, 0xf3, v110
	s_wait_alu 0xfffd
	v_add_co_ci_u32_e32 v25, vcc_lo, s3, v21, vcc_lo
	v_mul_f32_e32 v29, v3, v83
	s_delay_alu instid0(VALU_DEP_3)
	v_and_b32_e32 v31, 0xffff, v49
	s_wait_loadcnt 0x9
	v_mul_f32_e32 v3, v6, v85
	s_wait_alu 0xf1ff
	v_add_co_ci_u32_e64 v26, null, 0, 0, s2
	v_dual_fmac_f32 v29, v2, v82 :: v_dual_mul_f32 v2, v7, v85
	v_mul_u32_u24_e32 v28, 0xaaab, v31
	v_fma_f32 v3, v7, v84, -v3
	v_cmp_gt_u16_e32 vcc_lo, 0x51, v48
	s_delay_alu instid0(VALU_DEP_4) | instskip(NEXT) | instid1(VALU_DEP_4)
	v_fmac_f32_e32 v2, v6, v84
	v_lshrrev_b32_e32 v33, 18, v28
	v_mul_f32_e32 v28, v0, v81
	s_clause 0x2
	global_load_b64 v[98:99], v109, s[8:9] offset:9720
	global_load_b64 v[100:101], v109, s[8:9] offset:21384
	;; [unrolled: 1-line block ×3, first 2 shown]
	global_load_b64 v[22:23], v[20:21], off
	global_load_b64 v[20:21], v[24:25], off
	v_and_b32_e32 v24, 0xff, v48
	v_add_nc_u32_e32 v114, 0x1e00, v109
	v_mul_lo_u16 v25, v48, 6
	v_add_nc_u32_e32 v115, 0xf00, v109
	v_add_nc_u32_e32 v111, 0x4bc0, v109
	v_mul_lo_u16 v27, 0xab, v24
	v_fma_f32 v28, v1, v80, -v28
	v_and_b32_e32 v25, 0xffff, v25
	v_mul_lo_u16 v35, v33, 6
	s_load_b128 s[4:7], s[6:7], 0x0
	v_lshrrev_b16 v32, 10, v27
	s_delay_alu instid0(VALU_DEP_1)
	v_mul_lo_u16 v34, v32, 6
	s_wait_loadcnt 0x9
	v_mul_f32_e32 v6, v17, v91
	v_mul_f32_e32 v27, v1, v81
	;; [unrolled: 1-line block ×3, first 2 shown]
	s_wait_loadcnt 0x8
	v_dual_mul_f32 v7, v16, v91 :: v_dual_mul_f32 v36, v18, v97
	v_fmac_f32_e32 v6, v16, v90
	v_dual_fmac_f32 v27, v0, v80 :: v_dual_add_nc_u32 v112, 0x3c80, v109
	v_mul_f32_e32 v0, v5, v87
	v_lshlrev_b32_e32 v132, 3, v25
	s_delay_alu instid0(VALU_DEP_2) | instskip(SKIP_4) | instid1(VALU_DEP_4)
	v_fmac_f32_e32 v0, v4, v86
	v_mul_f32_e32 v4, v9, v89
	v_add_nc_u32_e32 v113, 0x2d80, v109
	v_fma_f32 v1, v5, v86, -v1
	v_mul_f32_e32 v5, v8, v89
	v_fmac_f32_e32 v4, v8, v88
	v_mul_f32_e32 v8, v19, v97
	v_fma_f32 v7, v17, v90, -v7
	s_delay_alu instid0(VALU_DEP_2)
	v_fmac_f32_e32 v8, v18, v96
	v_fma_f32 v5, v9, v88, -v5
	ds_store_b64 v109, v[29:30] offset:3888
	ds_store_b64 v109, v[0:1] offset:7776
	;; [unrolled: 1-line block ×5, first 2 shown]
	v_sub_nc_u16 v29, v49, v35
	s_wait_loadcnt 0x7
	v_mul_f32_e32 v0, v11, v95
	s_wait_loadcnt 0x5
	v_dual_mul_f32 v1, v10, v95 :: v_dual_mul_f32 v4, v15, v93
	v_mul_f32_e32 v5, v14, v93
	s_delay_alu instid0(VALU_DEP_3) | instskip(NEXT) | instid1(VALU_DEP_3)
	v_fmac_f32_e32 v0, v10, v94
	v_fma_f32 v1, v11, v94, -v1
	s_delay_alu instid0(VALU_DEP_3)
	v_fma_f32 v5, v15, v92, -v5
	s_wait_loadcnt 0x4
	v_mul_f32_e32 v2, v13, v99
	v_mul_f32_e32 v3, v12, v99
	v_fma_f32 v9, v19, v96, -v36
	s_wait_loadcnt 0x1
	s_delay_alu instid0(VALU_DEP_3) | instskip(NEXT) | instid1(VALU_DEP_3)
	v_dual_mul_f32 v7, v22, v103 :: v_dual_fmac_f32 v2, v12, v98
	v_fma_f32 v3, v13, v98, -v3
	ds_store_2addr_b64 v109, v[27:28], v[8:9] offset1:243
	v_sub_nc_u16 v28, v48, v34
	v_mul_lo_u16 v34, v29, 40
	v_mul_f32_e32 v6, v23, v103
	s_wait_loadcnt 0x0
	v_mul_f32_e32 v8, v21, v101
	v_mul_f32_e32 v9, v20, v101
	v_mul_u32_u24_e32 v27, 6, v49
	v_fmac_f32_e32 v4, v14, v92
	v_fma_f32 v7, v23, v102, -v7
	v_and_b32_e32 v25, 0xffff, v34
	v_fmac_f32_e32 v6, v22, v102
	v_fmac_f32_e32 v8, v20, v100
	v_fma_f32 v9, v21, v100, -v9
	v_lshlrev_b32_e32 v131, 3, v27
	ds_store_b64 v109, v[0:1] offset:5832
	ds_store_b64 v109, v[2:3] offset:9720
	;; [unrolled: 1-line block ×5, first 2 shown]
	global_wb scope:SCOPE_SE
	s_wait_dscnt 0x0
	s_wait_kmcnt 0x0
	s_barrier_signal -1
	s_barrier_wait -1
	global_inv scope:SCOPE_SE
	ds_load_2addr_b64 v[0:3], v109 offset1:243
	ds_load_2addr_b64 v[4:7], v114 offset0:12 offset1:255
	ds_load_2addr_b64 v[8:11], v112 offset0:8 offset1:251
	;; [unrolled: 1-line block ×5, first 2 shown]
	v_and_b32_e32 v30, 0xff, v28
	global_wb scope:SCOPE_SE
	s_wait_dscnt 0x0
	s_barrier_signal -1
	s_barrier_wait -1
	global_inv scope:SCOPE_SE
	v_dual_add_f32 v34, v0, v4 :: v_dual_add_f32 v41, v13, v17
	v_add_f32_e32 v35, v4, v8
	v_sub_f32_e32 v4, v4, v8
	v_dual_add_f32 v39, v16, v20 :: v_dual_sub_f32 v40, v17, v21
	v_add_f32_e32 v47, v18, v22
	v_add_f32_e32 v17, v17, v21
	v_dual_sub_f32 v36, v5, v9 :: v_dual_add_f32 v45, v3, v7
	v_add_f32_e32 v37, v1, v5
	v_dual_add_f32 v5, v5, v9 :: v_dual_add_f32 v38, v12, v16
	v_dual_sub_f32 v16, v16, v20 :: v_dual_add_f32 v51, v15, v19
	v_add_f32_e32 v42, v2, v6
	s_delay_alu instid0(VALU_DEP_4)
	v_dual_sub_f32 v44, v7, v11 :: v_dual_add_f32 v9, v37, v9
	v_dual_add_f32 v7, v7, v11 :: v_dual_add_f32 v46, v14, v18
	v_sub_f32_e32 v50, v19, v23
	v_add_f32_e32 v19, v19, v23
	v_fma_f32 v0, -0.5, v35, v0
	v_add_f32_e32 v8, v34, v8
	v_fma_f32 v34, -0.5, v39, v12
	v_fma_f32 v17, -0.5, v17, v13
	v_add_f32_e32 v43, v6, v10
	v_fma_f32 v1, -0.5, v5, v1
	v_dual_sub_f32 v6, v6, v10 :: v_dual_add_f32 v35, v45, v11
	v_dual_sub_f32 v18, v18, v22 :: v_dual_fmac_f32 v15, -0.5, v19
	v_dual_add_f32 v20, v38, v20 :: v_dual_fmamk_f32 v37, v40, 0x3f5db3d7, v34
	v_dual_add_f32 v12, v41, v21 :: v_dual_add_f32 v21, v42, v10
	v_fmac_f32_e32 v3, -0.5, v7
	v_add_f32_e32 v7, v46, v22
	v_fma_f32 v14, -0.5, v47, v14
	v_add_f32_e32 v22, v51, v23
	v_dual_fmamk_f32 v38, v16, 0xbf5db3d7, v17 :: v_dual_sub_f32 v11, v9, v12
	v_fmac_f32_e32 v17, 0x3f5db3d7, v16
	v_fma_f32 v2, -0.5, v43, v2
	v_fmamk_f32 v23, v36, 0x3f5db3d7, v0
	v_fmac_f32_e32 v0, 0xbf5db3d7, v36
	v_dual_fmamk_f32 v36, v4, 0xbf5db3d7, v1 :: v_dual_add_f32 v5, v9, v12
	v_fmac_f32_e32 v1, 0x3f5db3d7, v4
	v_dual_fmac_f32 v34, 0xbf5db3d7, v40 :: v_dual_sub_f32 v19, v35, v22
	v_add_f32_e32 v4, v8, v20
	v_sub_f32_e32 v10, v8, v20
	v_fmamk_f32 v40, v6, 0xbf5db3d7, v3
	v_dual_fmac_f32 v3, 0x3f5db3d7, v6 :: v_dual_fmamk_f32 v6, v50, 0x3f5db3d7, v14
	v_dual_fmac_f32 v14, 0xbf5db3d7, v50 :: v_dual_mul_f32 v41, -0.5, v17
	v_dual_fmamk_f32 v8, v18, 0xbf5db3d7, v15 :: v_dual_add_f32 v13, v35, v22
	v_mul_f32_e32 v35, 0xbf5db3d7, v37
	s_delay_alu instid0(VALU_DEP_3)
	v_mul_f32_e32 v43, -0.5, v14
	v_fmac_f32_e32 v15, 0x3f5db3d7, v18
	v_dual_mul_f32 v16, 0x3f5db3d7, v38 :: v_dual_fmamk_f32 v39, v44, 0x3f5db3d7, v2
	v_add_f32_e32 v12, v21, v7
	v_fmac_f32_e32 v2, 0xbf5db3d7, v44
	v_dual_sub_f32 v18, v21, v7 :: v_dual_mul_f32 v21, -0.5, v34
	v_dual_mul_f32 v42, 0x3f5db3d7, v8 :: v_dual_fmac_f32 v35, 0.5, v38
	v_dual_mul_f32 v44, 0xbf5db3d7, v6 :: v_dual_mul_f32 v45, -0.5, v15
	v_dual_fmac_f32 v16, 0.5, v37 :: v_dual_fmac_f32 v41, 0xbf5db3d7, v34
	s_delay_alu instid0(VALU_DEP_4)
	v_fmac_f32_e32 v21, 0x3f5db3d7, v17
	v_mad_co_u64_u32 v[27:28], null, v30, 40, s[10:11]
	v_dual_fmac_f32 v42, 0.5, v6 :: v_dual_fmac_f32 v43, 0x3f5db3d7, v15
	v_dual_add_f32 v7, v36, v35 :: v_dual_fmac_f32 v44, 0.5, v8
	v_dual_fmac_f32 v45, 0xbf5db3d7, v14 :: v_dual_add_f32 v6, v23, v16
	v_add_f32_e32 v9, v1, v41
	v_dual_add_f32 v8, v0, v21 :: v_dual_and_b32 v51, 0xffff, v72
	v_sub_f32_e32 v20, v23, v16
	v_sub_f32_e32 v22, v0, v21
	;; [unrolled: 1-line block ×3, first 2 shown]
	v_dual_sub_f32 v23, v1, v41 :: v_dual_add_f32 v14, v39, v42
	v_dual_add_f32 v16, v2, v43 :: v_dual_add_f32 v15, v40, v44
	v_dual_add_f32 v17, v3, v45 :: v_dual_sub_f32 v2, v2, v43
	v_dual_sub_f32 v0, v39, v42 :: v_dual_sub_f32 v1, v40, v44
	v_dual_sub_f32 v3, v3, v45 :: v_dual_and_b32 v50, 0xffff, v56
	ds_store_b128 v132, v[4:7]
	ds_store_b128 v132, v[8:11] offset:16
	ds_store_b128 v132, v[20:23] offset:32
	ds_store_b128 v131, v[12:15]
	ds_store_b128 v131, v[16:19] offset:16
	ds_store_b128 v131, v[0:3] offset:32
	global_wb scope:SCOPE_SE
	s_wait_dscnt 0x0
	s_barrier_signal -1
	s_barrier_wait -1
	global_inv scope:SCOPE_SE
	s_clause 0x1
	global_load_b128 v[76:79], v[27:28], off
	global_load_b128 v[60:63], v[27:28], off offset:16
	v_add_co_u32 v0, s2, s10, v25
	s_wait_alu 0xf1ff
	v_add_co_ci_u32_e64 v1, null, s11, 0, s2
	s_clause 0x3
	global_load_b64 v[105:106], v[27:28], off offset:32
	global_load_b128 v[68:71], v[0:1], off
	global_load_b128 v[64:67], v[0:1], off offset:16
	global_load_b64 v[107:108], v[0:1], off offset:32
	v_mul_lo_u16 v0, v24, 57
	v_mul_u32_u24_e32 v1, 0xe38f, v50
	v_mul_u32_u24_e32 v2, 0xe38f, v51
	v_and_b32_e32 v4, 0xffff, v32
	v_mad_u16 v8, v33, 36, v29
	v_lshrrev_b16 v25, 11, v0
	v_mul_u32_u24_e32 v0, 0xe38f, v31
	v_lshrrev_b32_e32 v52, 21, v1
	v_lshrrev_b32_e32 v53, 21, v2
	v_mul_u32_u24_e32 v1, 36, v4
	v_mul_lo_u16 v3, v25, 36
	v_lshrrev_b32_e32 v31, 21, v0
	v_and_b32_e32 v21, 0xffff, v8
	v_mul_lo_u16 v4, v53, 36
	v_add_lshl_u32 v124, v1, v30, 3
	v_sub_nc_u16 v0, v48, v3
	v_mul_lo_u16 v2, v31, 36
	v_mul_lo_u16 v3, v52, 36
	v_sub_nc_u16 v57, v72, v4
	ds_load_2addr_b64 v[4:7], v114 offset0:12 offset1:255
	v_and_b32_e32 v54, 0xff, v0
	v_sub_nc_u16 v30, v49, v2
	v_sub_nc_u16 v55, v56, v3
	ds_load_2addr_b64 v[0:3], v115 offset0:6 offset1:249
	ds_load_2addr_b64 v[8:11], v113 offset0:2 offset1:245
	v_lshlrev_b16 v20, 4, v57
	v_lshlrev_b16 v12, 4, v30
	;; [unrolled: 1-line block ×3, first 2 shown]
	s_delay_alu instid0(VALU_DEP_3) | instskip(NEXT) | instid1(VALU_DEP_3)
	v_and_b32_e32 v33, 0xffff, v20
	v_and_b32_e32 v22, 0xffff, v12
	ds_load_2addr_b64 v[12:15], v112 offset0:8 offset1:251
	v_and_b32_e32 v29, 0xffff, v16
	ds_load_2addr_b64 v[16:19], v111 offset0:6 offset1:249
	v_lshlrev_b32_e32 v125, 3, v21
	s_wait_loadcnt_dscnt 0x503
	v_mul_f32_e32 v34, v1, v77
	s_wait_loadcnt_dscnt 0x401
	v_mul_f32_e32 v40, v13, v63
	v_mul_f32_e32 v41, v12, v63
	v_add_co_u32 v27, s2, s10, v22
	ds_load_2addr_b64 v[20:23], v109 offset1:243
	v_dual_mul_f32 v35, v0, v77 :: v_dual_mul_f32 v36, v5, v79
	v_dual_mul_f32 v37, v4, v79 :: v_dual_lshlrev_b32 v32, 4, v54
	v_mul_f32_e32 v39, v8, v61
	s_wait_loadcnt_dscnt 0x301
	v_dual_mul_f32 v38, v9, v61 :: v_dual_mul_f32 v43, v16, v106
	s_wait_loadcnt 0x2
	v_dual_mul_f32 v42, v17, v106 :: v_dual_mul_f32 v45, v2, v69
	v_dual_mul_f32 v44, v3, v69 :: v_dual_mul_f32 v47, v6, v71
	s_wait_loadcnt 0x1
	v_dual_mul_f32 v46, v7, v71 :: v_dual_mul_f32 v59, v10, v65
	s_wait_loadcnt 0x0
	v_dual_mul_f32 v73, v15, v67 :: v_dual_mul_f32 v116, v18, v108
	v_dual_mul_f32 v74, v14, v67 :: v_dual_mul_f32 v75, v19, v108
	v_dual_mul_f32 v58, v11, v65 :: v_dual_fmac_f32 v35, v1, v76
	v_fma_f32 v34, v0, v76, -v34
	v_fma_f32 v0, v4, v78, -v36
	v_dual_fmac_f32 v37, v5, v78 :: v_dual_fmac_f32 v116, v19, v107
	v_fma_f32 v1, v8, v60, -v38
	v_dual_fmac_f32 v39, v9, v60 :: v_dual_fmac_f32 v74, v15, v66
	v_fma_f32 v4, v12, v62, -v40
	v_fmac_f32_e32 v41, v13, v62
	v_fma_f32 v5, v16, v105, -v42
	v_fmac_f32_e32 v43, v17, v105
	v_fma_f32 v8, v2, v68, -v44
	v_fma_f32 v2, v6, v70, -v46
	v_fmac_f32_e32 v47, v7, v70
	v_fma_f32 v6, v14, v66, -v73
	v_dual_add_f32 v14, v34, v1 :: v_dual_fmac_f32 v59, v11, v64
	s_wait_dscnt 0x0
	v_dual_fmac_f32 v45, v3, v68 :: v_dual_add_f32 v12, v21, v37
	v_fma_f32 v3, v10, v64, -v58
	v_fma_f32 v7, v18, v107, -v75
	v_add_f32_e32 v9, v20, v0
	v_dual_add_f32 v10, v0, v4 :: v_dual_add_f32 v13, v37, v41
	v_add_f32_e32 v38, v23, v47
	v_dual_sub_f32 v0, v0, v4 :: v_dual_sub_f32 v11, v37, v41
	v_dual_add_f32 v18, v39, v43 :: v_dual_add_f32 v15, v1, v5
	v_sub_f32_e32 v40, v2, v6
	v_sub_f32_e32 v16, v39, v43
	v_dual_add_f32 v17, v35, v39 :: v_dual_add_f32 v36, v2, v6
	v_dual_sub_f32 v37, v47, v74 :: v_dual_add_f32 v46, v45, v59
	v_dual_add_f32 v39, v47, v74 :: v_dual_fmac_f32 v34, -0.5, v15
	v_add_f32_e32 v47, v59, v116
	v_sub_f32_e32 v1, v1, v5
	v_dual_add_f32 v19, v22, v2 :: v_dual_add_f32 v42, v3, v7
	v_add_f32_e32 v2, v8, v3
	v_dual_sub_f32 v44, v59, v116 :: v_dual_add_f32 v5, v14, v5
	v_dual_sub_f32 v58, v3, v7 :: v_dual_add_f32 v3, v9, v4
	v_fma_f32 v20, -0.5, v10, v20
	v_fma_f32 v21, -0.5, v13, v21
	v_fmac_f32_e32 v35, -0.5, v18
	v_dual_add_f32 v10, v38, v74 :: v_dual_fmac_f32 v45, -0.5, v47
	v_dual_add_f32 v4, v12, v41 :: v_dual_add_f32 v9, v17, v43
	v_add_f32_e32 v6, v19, v6
	v_fma_f32 v22, -0.5, v36, v22
	v_dual_fmac_f32 v23, -0.5, v39 :: v_dual_fmac_f32 v8, -0.5, v42
	v_add_f32_e32 v7, v2, v7
	v_dual_add_f32 v12, v46, v116 :: v_dual_fmamk_f32 v13, v11, 0x3f5db3d7, v20
	v_dual_fmac_f32 v20, 0xbf5db3d7, v11 :: v_dual_fmamk_f32 v15, v0, 0xbf5db3d7, v21
	v_dual_fmac_f32 v21, 0x3f5db3d7, v0 :: v_dual_sub_f32 v2, v3, v5
	v_fmamk_f32 v11, v16, 0x3f5db3d7, v34
	v_fmac_f32_e32 v34, 0xbf5db3d7, v16
	v_fmamk_f32 v14, v1, 0xbf5db3d7, v35
	v_add_f32_e32 v0, v3, v5
	v_fmamk_f32 v16, v58, 0xbf5db3d7, v45
	v_dual_fmac_f32 v35, 0x3f5db3d7, v1 :: v_dual_fmamk_f32 v36, v37, 0x3f5db3d7, v22
	v_add_f32_e32 v1, v4, v9
	v_sub_f32_e32 v3, v4, v9
	v_dual_fmac_f32 v22, 0xbf5db3d7, v37 :: v_dual_fmamk_f32 v37, v40, 0xbf5db3d7, v23
	v_dual_fmac_f32 v23, 0x3f5db3d7, v40 :: v_dual_add_f32 v4, v6, v7
	v_sub_f32_e32 v6, v6, v7
	v_dual_add_f32 v5, v10, v12 :: v_dual_mul_f32 v18, 0xbf5db3d7, v11
	v_mul_f32_e32 v17, -0.5, v34
	v_dual_fmamk_f32 v9, v44, 0x3f5db3d7, v8 :: v_dual_mul_f32 v38, 0x3f5db3d7, v16
	v_dual_sub_f32 v7, v10, v12 :: v_dual_mul_f32 v12, 0x3f5db3d7, v14
	v_fmac_f32_e32 v45, 0x3f5db3d7, v58
	v_dual_fmac_f32 v8, 0xbf5db3d7, v44 :: v_dual_mul_f32 v19, -0.5, v35
	v_fmac_f32_e32 v18, 0.5, v14
	v_mul_f32_e32 v40, 0xbf5db3d7, v9
	s_delay_alu instid0(VALU_DEP_4) | instskip(NEXT) | instid1(VALU_DEP_4)
	v_dual_fmac_f32 v12, 0.5, v11 :: v_dual_mul_f32 v41, -0.5, v45
	v_dual_mul_f32 v39, -0.5, v8 :: v_dual_fmac_f32 v38, 0.5, v9
	s_delay_alu instid0(VALU_DEP_3) | instskip(NEXT) | instid1(VALU_DEP_3)
	v_dual_fmac_f32 v17, 0x3f5db3d7, v35 :: v_dual_fmac_f32 v40, 0.5, v16
	v_fmac_f32_e32 v41, 0xbf5db3d7, v8
	s_delay_alu instid0(VALU_DEP_4) | instskip(NEXT) | instid1(VALU_DEP_3)
	v_dual_add_f32 v8, v13, v12 :: v_dual_fmac_f32 v19, 0xbf5db3d7, v34
	v_add_f32_e32 v10, v20, v17
	v_dual_fmac_f32 v39, 0x3f5db3d7, v45 :: v_dual_sub_f32 v12, v13, v12
	s_wait_alu 0xf1ff
	v_add_co_ci_u32_e64 v28, null, s11, 0, s2
	v_add_f32_e32 v9, v15, v18
	v_dual_add_f32 v11, v21, v19 :: v_dual_add_f32 v16, v36, v38
	v_dual_sub_f32 v14, v20, v17 :: v_dual_sub_f32 v13, v15, v18
	v_dual_sub_f32 v15, v21, v19 :: v_dual_sub_f32 v20, v36, v38
	v_dual_add_f32 v17, v37, v40 :: v_dual_add_f32 v18, v22, v39
	v_add_f32_e32 v19, v23, v41
	global_wb scope:SCOPE_SE
	s_barrier_signal -1
	s_barrier_wait -1
	global_inv scope:SCOPE_SE
	v_dual_sub_f32 v22, v22, v39 :: v_dual_sub_f32 v21, v37, v40
	v_sub_f32_e32 v23, v23, v41
	ds_store_2addr_b64 v124, v[0:1], v[8:9] offset1:6
	ds_store_2addr_b64 v124, v[10:11], v[2:3] offset0:12 offset1:18
	ds_store_2addr_b64 v124, v[12:13], v[14:15] offset0:24 offset1:30
	ds_store_2addr_b64 v125, v[4:5], v[16:17] offset1:6
	ds_store_2addr_b64 v125, v[18:19], v[6:7] offset0:12 offset1:18
	ds_store_2addr_b64 v125, v[20:21], v[22:23] offset0:24 offset1:30
	global_wb scope:SCOPE_SE
	s_wait_dscnt 0x0
	s_barrier_signal -1
	s_barrier_wait -1
	global_inv scope:SCOPE_SE
	s_clause 0x1
	global_load_b128 v[40:43], v[27:28], off offset:240
	global_load_b128 v[44:47], v32, s[10:11] offset:240
	v_add_co_u32 v0, s2, s10, v29
	s_wait_alu 0xf1ff
	v_add_co_ci_u32_e64 v1, null, s11, 0, s2
	v_add_co_u32 v2, s2, s10, v33
	s_wait_alu 0xf1ff
	v_add_co_ci_u32_e64 v3, null, s11, 0, s2
	s_clause 0x1
	global_load_b128 v[36:39], v[0:1], off offset:240
	global_load_b128 v[32:35], v[2:3], off offset:240
	v_mul_lo_u16 v0, v24, 19
	v_and_b32_e32 v4, 0xffff, v25
	v_mad_u16 v5, 0x6c, v53, v57
	v_lshrrev_b16 v1, 2, v56
	v_lshrrev_b16 v2, 2, v72
	;; [unrolled: 1-line block ×3, first 2 shown]
	v_mul_u32_u24_e32 v4, 0x6c, v4
	v_and_b32_e32 v9, 0xffff, v5
	v_lshrrev_b16 v0, 2, v49
	v_and_b32_e32 v2, 0xffff, v2
	v_mul_lo_u16 v3, 0x6c, v27
	v_add_lshl_u32 v117, v4, v54, 3
	v_mad_u16 v4, 0x6c, v52, v55
	v_and_b32_e32 v0, 0xffff, v0
	v_mul_u32_u24_e32 v2, 0x4bdb, v2
	v_sub_nc_u16 v3, v48, v3
	s_delay_alu instid0(VALU_DEP_4) | instskip(NEXT) | instid1(VALU_DEP_4)
	v_and_b32_e32 v8, 0xffff, v4
	v_mul_u32_u24_e32 v0, 0x4bdb, v0
	s_delay_alu instid0(VALU_DEP_4) | instskip(NEXT) | instid1(VALU_DEP_4)
	v_lshrrev_b32_e32 v74, 19, v2
	v_and_b32_e32 v28, 0xff, v3
	v_mad_u16 v3, 0x6c, v31, v30
	s_delay_alu instid0(VALU_DEP_4) | instskip(NEXT) | instid1(VALU_DEP_4)
	v_lshrrev_b32_e32 v29, 19, v0
	v_mul_lo_u16 v2, 0x6c, v74
	s_delay_alu instid0(VALU_DEP_3) | instskip(NEXT) | instid1(VALU_DEP_3)
	v_and_b32_e32 v6, 0xffff, v3
	v_mul_lo_u16 v0, 0x6c, v29
	s_delay_alu instid0(VALU_DEP_3) | instskip(NEXT) | instid1(VALU_DEP_3)
	v_sub_nc_u16 v52, v72, v2
	v_lshlrev_b32_e32 v119, 3, v6
	ds_load_2addr_b64 v[4:7], v112 offset0:8 offset1:251
	v_and_b32_e32 v1, 0xffff, v1
	v_sub_nc_u16 v30, v49, v0
	v_lshlrev_b16 v12, 4, v52
	v_lshlrev_b32_e32 v116, 3, v9
	s_delay_alu instid0(VALU_DEP_3) | instskip(NEXT) | instid1(VALU_DEP_3)
	v_lshlrev_b16 v10, 4, v30
	v_and_b32_e32 v55, 0xffff, v12
	s_delay_alu instid0(VALU_DEP_2)
	v_and_b32_e32 v16, 0xffff, v10
	s_wait_loadcnt_dscnt 0x300
	v_mul_f32_e32 v122, v7, v43
	v_mul_u32_u24_e32 v1, 0x4bdb, v1
	s_wait_loadcnt 0x2
	v_dual_mul_f32 v59, v5, v47 :: v_dual_lshlrev_b32 v118, 3, v8
	v_mul_f32_e32 v75, v4, v47
	v_mul_f32_e32 v123, v6, v43
	v_lshrrev_b32_e32 v73, 19, v1
	s_delay_alu instid0(VALU_DEP_1) | instskip(NEXT) | instid1(VALU_DEP_1)
	v_mul_lo_u16 v1, 0x6c, v73
	v_sub_nc_u16 v31, v56, v1
	ds_load_2addr_b64 v[0:3], v114 offset0:12 offset1:255
	v_lshlrev_b32_e32 v54, 4, v28
	v_lshlrev_b16 v11, 4, v31
	s_delay_alu instid0(VALU_DEP_1)
	v_and_b32_e32 v53, 0xffff, v11
	ds_load_2addr_b64 v[8:11], v113 offset0:2 offset1:245
	ds_load_2addr_b64 v[12:15], v111 offset0:6 offset1:249
	s_wait_dscnt 0x2
	v_mul_f32_e32 v120, v3, v41
	v_mul_f32_e32 v57, v1, v45
	;; [unrolled: 1-line block ×4, first 2 shown]
	s_delay_alu instid0(VALU_DEP_3) | instskip(NEXT) | instid1(VALU_DEP_3)
	v_fma_f32 v0, v0, v44, -v57
	v_fmac_f32_e32 v58, v1, v44
	v_fma_f32 v1, v2, v40, -v120
	s_wait_loadcnt_dscnt 0x101
	v_mul_f32_e32 v127, v8, v37
	v_add_co_u32 v24, s2, s10, v16
	ds_load_2addr_b64 v[16:19], v109 offset1:243
	ds_load_2addr_b64 v[20:23], v115 offset0:6 offset1:249
	v_mul_f32_e32 v126, v9, v37
	s_wait_dscnt 0x2
	v_mul_f32_e32 v128, v13, v39
	s_wait_loadcnt 0x0
	v_dual_mul_f32 v129, v12, v39 :: v_dual_mul_f32 v130, v11, v33
	v_dual_mul_f32 v133, v10, v33 :: v_dual_mul_f32 v134, v15, v35
	v_mul_f32_e32 v135, v14, v35
	v_fma_f32 v2, v4, v46, -v59
	v_fmac_f32_e32 v121, v3, v40
	v_fmac_f32_e32 v75, v5, v46
	v_fma_f32 v4, v6, v42, -v122
	v_fma_f32 v3, v8, v36, -v126
	v_fma_f32 v6, v12, v38, -v128
	v_fmac_f32_e32 v123, v7, v42
	v_fma_f32 v5, v10, v32, -v130
	v_sub_f32_e32 v120, v1, v4
	v_fmac_f32_e32 v127, v9, v36
	v_fma_f32 v10, v14, v34, -v134
	v_sub_f32_e32 v14, v0, v2
	v_add_f32_e32 v8, v0, v2
	v_fmac_f32_e32 v129, v13, v38
	s_wait_dscnt 0x0
	v_dual_fmac_f32 v133, v11, v32 :: v_dual_add_f32 v128, v21, v127
	v_dual_fmac_f32 v135, v15, v34 :: v_dual_add_f32 v134, v22, v5
	v_dual_add_f32 v7, v16, v0 :: v_dual_add_f32 v122, v3, v6
	v_add_f32_e32 v12, v18, v1
	v_dual_add_f32 v11, v58, v75 :: v_dual_sub_f32 v130, v3, v6
	s_delay_alu instid0(VALU_DEP_3)
	v_dual_add_f32 v15, v1, v4 :: v_dual_add_f32 v0, v7, v2
	v_add_f32_e32 v59, v121, v123
	v_sub_f32_e32 v13, v58, v75
	v_dual_add_f32 v9, v17, v58 :: v_dual_add_f32 v138, v23, v133
	v_dual_sub_f32 v57, v121, v123 :: v_dual_add_f32 v4, v12, v4
	v_dual_add_f32 v58, v19, v121 :: v_dual_add_f32 v121, v20, v3
	v_add_f32_e32 v136, v5, v10
	v_sub_f32_e32 v126, v127, v129
	v_add_f32_e32 v127, v127, v129
	v_fma_f32 v2, -0.5, v8, v16
	v_add_f32_e32 v6, v121, v6
	v_sub_f32_e32 v137, v133, v135
	v_fma_f32 v3, -0.5, v11, v17
	v_fma_f32 v18, -0.5, v15, v18
	v_add_f32_e32 v133, v133, v135
	v_fma_f32 v8, -0.5, v122, v20
	v_sub_f32_e32 v139, v5, v10
	v_dual_add_f32 v10, v134, v10 :: v_dual_fmac_f32 v19, -0.5, v59
	v_add_f32_e32 v1, v9, v75
	v_fma_f32 v9, -0.5, v127, v21
	v_dual_add_f32 v5, v58, v123 :: v_dual_fmamk_f32 v12, v13, 0x3f5db3d7, v2
	v_fma_f32 v22, -0.5, v136, v22
	v_dual_fmac_f32 v2, 0xbf5db3d7, v13 :: v_dual_fmamk_f32 v13, v14, 0xbf5db3d7, v3
	v_dual_fmac_f32 v3, 0x3f5db3d7, v14 :: v_dual_fmamk_f32 v14, v57, 0x3f5db3d7, v18
	v_fmac_f32_e32 v18, 0xbf5db3d7, v57
	v_fmac_f32_e32 v23, -0.5, v133
	v_fmamk_f32 v15, v120, 0xbf5db3d7, v19
	v_fmac_f32_e32 v19, 0x3f5db3d7, v120
	v_dual_add_f32 v7, v128, v129 :: v_dual_fmamk_f32 v20, v137, 0x3f5db3d7, v22
	v_fmamk_f32 v16, v126, 0x3f5db3d7, v8
	v_fmamk_f32 v17, v130, 0xbf5db3d7, v9
	global_wb scope:SCOPE_SE
	s_barrier_signal -1
	s_barrier_wait -1
	global_inv scope:SCOPE_SE
	v_dual_add_f32 v11, v138, v135 :: v_dual_fmac_f32 v22, 0xbf5db3d7, v137
	v_fmac_f32_e32 v8, 0xbf5db3d7, v126
	v_fmac_f32_e32 v9, 0x3f5db3d7, v130
	v_fmamk_f32 v21, v139, 0xbf5db3d7, v23
	v_fmac_f32_e32 v23, 0x3f5db3d7, v139
	ds_store_2addr_b64 v117, v[0:1], v[12:13] offset1:36
	ds_store_b64 v117, v[2:3] offset:576
	ds_store_2addr_b64 v119, v[4:5], v[14:15] offset1:36
	ds_store_b64 v119, v[18:19] offset:576
	;; [unrolled: 2-line block ×4, first 2 shown]
	global_wb scope:SCOPE_SE
	s_wait_dscnt 0x0
	s_barrier_signal -1
	s_barrier_wait -1
	global_inv scope:SCOPE_SE
	global_load_b128 v[12:15], v54, s[10:11] offset:816
	s_wait_alu 0xf1ff
	v_add_co_ci_u32_e64 v25, null, s11, 0, s2
	v_add_co_u32 v0, s2, s10, v53
	s_wait_alu 0xf1ff
	v_add_co_ci_u32_e64 v1, null, s11, 0, s2
	v_add_co_u32 v2, s2, s10, v55
	s_wait_alu 0xf1ff
	v_add_co_ci_u32_e64 v3, null, s11, 0, s2
	s_clause 0x2
	global_load_b128 v[8:11], v[24:25], off offset:816
	global_load_b128 v[4:7], v[0:1], off offset:816
	;; [unrolled: 1-line block ×3, first 2 shown]
	v_add_co_u32 v16, s2, 0xffffffaf, v110
	s_wait_alu 0xf1ff
	v_add_co_ci_u32_e64 v17, null, 0, -1, s2
	v_mul_u32_u24_e32 v18, 0x6523, v50
	v_mul_u32_u24_e32 v19, 0x6523, v51
	s_delay_alu instid0(VALU_DEP_3) | instskip(SKIP_1) | instid1(VALU_DEP_4)
	v_dual_cndmask_b32 v57, v16, v49 :: v_dual_cndmask_b32 v58, v17, v26
	v_mad_u16 v24, 0x144, v73, v31
	v_lshrrev_b32_e32 v55, 23, v18
	v_and_b32_e32 v18, 0xffff, v27
	v_lshrrev_b32_e32 v17, 23, v19
	v_mad_u16 v25, 0x144, v74, v52
	v_lshlrev_b32_e32 v50, 4, v110
	v_mul_lo_u16 v19, 0x144, v55
	v_mul_u32_u24_e32 v18, 0x144, v18
	v_mul_lo_u16 v20, 0x144, v17
	v_lshlrev_b64_e32 v[16:17], 4, v[57:58]
	s_delay_alu instid0(VALU_DEP_4) | instskip(NEXT) | instid1(VALU_DEP_4)
	v_sub_nc_u16 v75, v56, v19
	v_add_lshl_u32 v121, v18, v28, 3
	s_delay_alu instid0(VALU_DEP_4)
	v_sub_nc_u16 v130, v72, v20
	v_mad_u16 v20, 0x144, v29, v30
	v_add_co_u32 v58, vcc_lo, s10, v16
	s_wait_alu 0xfffd
	v_add_co_ci_u32_e32 v59, vcc_lo, s11, v17, vcc_lo
	v_lshlrev_b16 v16, 4, v75
	v_lshlrev_b16 v17, 4, v130
	v_mad_u16 v55, 0x3cc, v55, v75
	v_cmp_lt_u16_e32 vcc_lo, 0x50, v48
	v_lshlrev_b32_e32 v56, 4, v56
	v_and_b32_e32 v28, 0xffff, v16
	v_and_b32_e32 v133, 0xffff, v17
	ds_load_2addr_b64 v[16:19], v114 offset0:12 offset1:255
	v_and_b32_e32 v52, 0xffff, v24
	s_wait_alu 0xfffd
	v_cndmask_b32_e64 v48, 0, 0x3cc, vcc_lo
	s_wait_loadcnt_dscnt 0x300
	v_dual_mul_f32 v135, v16, v13 :: v_dual_lshlrev_b32 v72, 4, v72
	v_add_co_u32 v73, s2, s10, v28
	ds_load_2addr_b64 v[28:31], v111 offset0:6 offset1:249
	v_and_b32_e32 v53, 0xffff, v25
	ds_load_2addr_b64 v[24:27], v113 offset0:2 offset1:245
	v_and_b32_e32 v51, 0xffff, v20
	ds_load_2addr_b64 v[20:23], v112 offset0:8 offset1:251
	v_mul_f32_e32 v134, v17, v13
	s_wait_alu 0xf1ff
	v_add_co_ci_u32_e64 v74, null, s11, 0, s2
	s_wait_loadcnt 0x2
	v_mul_f32_e32 v137, v19, v9
	v_mul_f32_e32 v138, v18, v9
	v_lshlrev_b32_e32 v122, 3, v52
	v_fma_f32 v16, v16, v12, -v134
	s_delay_alu instid0(VALU_DEP_3)
	v_fmac_f32_e32 v138, v19, v8
	s_wait_loadcnt_dscnt 0x102
	v_mul_f32_e32 v144, v29, v7
	s_wait_loadcnt 0x0
	v_mul_f32_e32 v148, v31, v3
	s_wait_dscnt 0x1
	v_mul_f32_e32 v146, v26, v1
	v_mul_f32_e32 v142, v25, v5
	s_wait_dscnt 0x0
	v_mul_f32_e32 v136, v21, v15
	v_mul_f32_e32 v140, v23, v11
	v_lshlrev_b32_e32 v123, 3, v51
	v_lshlrev_b32_e32 v120, 3, v53
	ds_load_2addr_b64 v[51:54], v109 offset1:243
	ds_load_2addr_b64 v[126:129], v115 offset0:6 offset1:249
	v_dual_mul_f32 v139, v20, v15 :: v_dual_fmac_f32 v146, v27, v0
	v_fmac_f32_e32 v135, v17, v12
	v_fma_f32 v17, v18, v8, -v137
	v_fma_f32 v18, v20, v14, -v136
	;; [unrolled: 1-line block ×3, first 2 shown]
	v_mul_f32_e32 v141, v22, v11
	v_fma_f32 v19, v24, v4, -v142
	v_fma_f32 v22, v28, v6, -v144
	s_delay_alu instid0(VALU_DEP_4)
	v_dual_mul_f32 v149, v30, v3 :: v_dual_add_f32 v136, v17, v20
	v_mul_f32_e32 v145, v27, v1
	global_wb scope:SCOPE_SE
	s_wait_dscnt 0x0
	v_add_f32_e32 v144, v19, v22
	v_fmac_f32_e32 v149, v31, v2
	v_fmac_f32_e32 v141, v23, v10
	s_barrier_signal -1
	s_barrier_wait -1
	s_delay_alu instid0(VALU_DEP_2) | instskip(NEXT) | instid1(VALU_DEP_2)
	v_dual_add_f32 v23, v51, v16 :: v_dual_sub_f32 v150, v146, v149
	v_dual_mul_f32 v147, v28, v7 :: v_dual_sub_f32 v134, v138, v141
	v_add_f32_e32 v28, v54, v138
	global_inv scope:SCOPE_SE
	v_fmac_f32_e32 v147, v29, v6
	v_fmac_f32_e32 v139, v21, v14
	v_mul_f32_e32 v143, v24, v5
	v_fma_f32 v21, v26, v0, -v145
	v_fma_f32 v24, v30, v2, -v148
	s_delay_alu instid0(VALU_DEP_4) | instskip(NEXT) | instid1(VALU_DEP_4)
	v_dual_add_f32 v29, v138, v141 :: v_dual_add_f32 v26, v135, v139
	v_fmac_f32_e32 v143, v25, v4
	s_delay_alu instid0(VALU_DEP_4) | instskip(NEXT) | instid1(VALU_DEP_4)
	v_dual_add_f32 v148, v129, v146 :: v_dual_add_f32 v151, v128, v21
	v_add_f32_e32 v152, v21, v24
	v_add_f32_e32 v146, v146, v149
	s_delay_alu instid0(VALU_DEP_4)
	v_add_f32_e32 v138, v127, v143
	v_sub_f32_e32 v140, v143, v147
	v_dual_sub_f32 v30, v135, v139 :: v_dual_add_f32 v25, v16, v18
	v_add_f32_e32 v142, v143, v147
	v_add_f32_e32 v27, v52, v135
	;; [unrolled: 1-line block ×3, first 2 shown]
	v_sub_f32_e32 v153, v21, v24
	v_dual_add_f32 v24, v151, v24 :: v_dual_sub_f32 v31, v16, v18
	v_fma_f32 v16, -0.5, v25, v51
	v_add_f32_e32 v143, v126, v19
	v_sub_f32_e32 v145, v19, v22
	v_add_f32_e32 v21, v28, v141
	v_fma_f32 v53, -0.5, v136, v53
	v_fmamk_f32 v28, v30, 0x3f5db3d7, v16
	v_fmac_f32_e32 v16, 0xbf5db3d7, v30
	v_dual_add_f32 v22, v143, v22 :: v_dual_sub_f32 v137, v17, v20
	v_fmac_f32_e32 v54, -0.5, v29
	v_fma_f32 v17, -0.5, v26, v52
	v_add_f32_e32 v18, v23, v18
	v_fma_f32 v26, -0.5, v144, v126
	v_add_f32_e32 v19, v27, v139
	;; [unrolled: 2-line block ×3, first 2 shown]
	v_fma_f32 v128, -0.5, v152, v128
	v_fmac_f32_e32 v129, -0.5, v146
	v_fmamk_f32 v29, v31, 0xbf5db3d7, v17
	v_fmac_f32_e32 v17, 0x3f5db3d7, v31
	v_fmamk_f32 v30, v134, 0x3f5db3d7, v53
	v_fmamk_f32 v31, v137, 0xbf5db3d7, v54
	v_fmac_f32_e32 v53, 0xbf5db3d7, v134
	v_dual_fmac_f32 v54, 0x3f5db3d7, v137 :: v_dual_add_f32 v23, v138, v147
	v_fmamk_f32 v51, v140, 0x3f5db3d7, v26
	v_dual_fmamk_f32 v52, v145, 0xbf5db3d7, v27 :: v_dual_add_f32 v25, v148, v149
	v_fmamk_f32 v126, v150, 0x3f5db3d7, v128
	v_fmac_f32_e32 v26, 0xbf5db3d7, v140
	v_fmac_f32_e32 v27, 0x3f5db3d7, v145
	v_dual_fmac_f32 v128, 0xbf5db3d7, v150 :: v_dual_fmamk_f32 v127, v153, 0xbf5db3d7, v129
	v_fmac_f32_e32 v129, 0x3f5db3d7, v153
	ds_store_2addr_b64 v121, v[18:19], v[28:29] offset1:108
	ds_store_b64 v121, v[16:17] offset:1728
	ds_store_2addr_b64 v123, v[20:21], v[30:31] offset1:108
	ds_store_b64 v123, v[53:54] offset:1728
	;; [unrolled: 2-line block ×4, first 2 shown]
	v_add_co_u32 v28, s2, s10, v133
	s_wait_alu 0xf1ff
	v_add_co_ci_u32_e64 v29, null, s11, 0, s2
	global_wb scope:SCOPE_SE
	s_wait_dscnt 0x0
	s_barrier_signal -1
	s_barrier_wait -1
	global_inv scope:SCOPE_SE
	s_clause 0x3
	global_load_b128 v[24:27], v50, s[10:11] offset:2544
	global_load_b128 v[20:23], v[58:59], off offset:2544
	global_load_b128 v[16:19], v[73:74], off offset:2544
	;; [unrolled: 1-line block ×3, first 2 shown]
	ds_load_2addr_b64 v[137:140], v113 offset0:2 offset1:245
	ds_load_2addr_b64 v[141:144], v111 offset0:6 offset1:249
	;; [unrolled: 1-line block ×4, first 2 shown]
	ds_load_2addr_b64 v[145:148], v109 offset1:243
	ds_load_2addr_b64 v[149:152], v115 offset0:6 offset1:249
	v_and_b32_e32 v58, 0xffff, v130
	v_add_lshl_u32 v128, v57, v48, 3
	global_wb scope:SCOPE_SE
	s_wait_loadcnt_dscnt 0x0
	s_barrier_signal -1
	s_barrier_wait -1
	global_inv scope:SCOPE_SE
	s_add_nc_u64 s[2:3], s[8:9], 0x5b20
	v_mul_f32_e32 v48, v52, v25
	v_mul_f32_e32 v156, v141, v19
	v_dual_mul_f32 v154, v139, v29 :: v_dual_and_b32 v55, 0xffff, v55
	v_dual_mul_f32 v158, v143, v31 :: v_dual_lshlrev_b32 v59, 4, v49
	s_delay_alu instid0(VALU_DEP_3) | instskip(NEXT) | instid1(VALU_DEP_3)
	v_dual_fmac_f32 v156, v142, v18 :: v_dual_mul_f32 v49, v51, v25
	v_dual_fmac_f32 v154, v140, v28 :: v_dual_lshlrev_b32 v127, 3, v55
	s_delay_alu instid0(VALU_DEP_3)
	v_fmac_f32_e32 v158, v144, v30
	v_lshlrev_b32_e32 v126, 3, v58
	v_mul_f32_e32 v58, v134, v27
	v_mul_f32_e32 v130, v137, v17
	v_fma_f32 v48, v51, v24, -v48
	v_dual_fmac_f32 v49, v52, v24 :: v_dual_sub_f32 v160, v154, v158
	v_mul_f32_e32 v73, v133, v27
	v_fma_f32 v52, v133, v26, -v58
	v_fmac_f32_e32 v130, v138, v16
	s_delay_alu instid0(VALU_DEP_4)
	v_add_f32_e32 v58, v146, v49
	v_mul_f32_e32 v57, v53, v21
	v_add_f32_e32 v133, v145, v48
	v_add_f32_e32 v159, v152, v154
	;; [unrolled: 1-line block ×3, first 2 shown]
	v_fmac_f32_e32 v73, v134, v26
	v_mul_f32_e32 v75, v135, v23
	v_fmac_f32_e32 v57, v54, v20
	v_dual_mul_f32 v55, v54, v21 :: v_dual_mul_f32 v74, v136, v23
	s_delay_alu instid0(VALU_DEP_3)
	v_dual_add_f32 v134, v49, v73 :: v_dual_fmac_f32 v75, v136, v22
	v_mul_f32_e32 v129, v138, v17
	v_mul_f32_e32 v153, v140, v29
	v_add_f32_e32 v136, v48, v52
	v_fma_f32 v51, v53, v20, -v55
	v_add_f32_e32 v140, v57, v75
	v_fma_f32 v54, v137, v16, -v129
	v_mul_f32_e32 v157, v144, v31
	v_fma_f32 v53, v135, v22, -v74
	v_mul_f32_e32 v155, v142, v19
	v_sub_f32_e32 v142, v57, v75
	v_fma_f32 v55, v139, v28, -v153
	v_add_f32_e32 v144, v149, v54
	v_add_f32_e32 v138, v51, v53
	v_fma_f32 v129, v143, v30, -v157
	v_fma_f32 v74, v141, v18, -v155
	v_dual_fmac_f32 v152, -0.5, v154 :: v_dual_add_f32 v161, v151, v55
	s_delay_alu instid0(VALU_DEP_3)
	v_add_f32_e32 v162, v55, v129
	v_dual_add_f32 v141, v148, v57 :: v_dual_fmac_f32 v148, -0.5, v140
	v_sub_f32_e32 v137, v48, v52
	v_add_f32_e32 v48, v133, v52
	v_fma_f32 v52, -0.5, v134, v146
	v_add_f32_e32 v155, v54, v74
	v_sub_f32_e32 v55, v55, v129
	v_dual_sub_f32 v157, v54, v74 :: v_dual_add_f32 v54, v141, v75
	s_delay_alu instid0(VALU_DEP_4)
	v_dual_sub_f32 v143, v51, v53 :: v_dual_fmamk_f32 v134, v137, 0xbf5db3d7, v52
	v_dual_add_f32 v57, v150, v130 :: v_dual_fmac_f32 v52, 0x3f5db3d7, v137
	v_sub_f32_e32 v153, v130, v156
	v_dual_add_f32 v130, v130, v156 :: v_dual_add_f32 v139, v147, v51
	v_fma_f32 v51, -0.5, v136, v145
	v_fma_f32 v147, -0.5, v138, v147
	v_fmamk_f32 v140, v55, 0xbf5db3d7, v152
	s_delay_alu instid0(VALU_DEP_4)
	v_fma_f32 v130, -0.5, v130, v150
	v_fma_f32 v151, -0.5, v162, v151
	v_fmamk_f32 v136, v143, 0xbf5db3d7, v148
	v_fmac_f32_e32 v148, 0x3f5db3d7, v143
	v_fmac_f32_e32 v152, 0x3f5db3d7, v55
	v_fmamk_f32 v138, v157, 0xbf5db3d7, v130
	v_sub_f32_e32 v135, v49, v73
	v_add_f32_e32 v49, v58, v73
	v_fmac_f32_e32 v130, 0x3f5db3d7, v157
	v_add_f32_e32 v73, v161, v129
	v_fma_f32 v129, -0.5, v155, v149
	v_dual_add_f32 v58, v57, v156 :: v_dual_add_f32 v57, v144, v74
	v_add_f32_e32 v74, v159, v158
	v_fmamk_f32 v133, v135, 0x3f5db3d7, v51
	v_fmac_f32_e32 v51, 0xbf5db3d7, v135
	v_add_f32_e32 v53, v139, v53
	v_fmamk_f32 v135, v142, 0x3f5db3d7, v147
	v_fmac_f32_e32 v147, 0xbf5db3d7, v142
	v_fmamk_f32 v137, v153, 0x3f5db3d7, v129
	v_fmac_f32_e32 v129, 0xbf5db3d7, v153
	;; [unrolled: 2-line block ×3, first 2 shown]
	ds_store_b64 v109, v[48:49]
	ds_store_b64 v109, v[133:134] offset:2592
	ds_store_b64 v109, v[51:52] offset:5184
	ds_store_b64 v128, v[53:54]
	ds_store_b64 v128, v[147:148] offset:5184
	ds_store_b64 v128, v[135:136] offset:2592
	;; [unrolled: 3-line block ×3, first 2 shown]
	ds_store_b64 v126, v[73:74] offset:15552
	ds_store_b64 v126, v[139:140] offset:18144
	;; [unrolled: 1-line block ×3, first 2 shown]
	global_wb scope:SCOPE_SE
	s_wait_dscnt 0x0
	s_barrier_signal -1
	s_barrier_wait -1
	global_inv scope:SCOPE_SE
	s_clause 0x3
	global_load_b128 v[52:55], v50, s[10:11] offset:7728
	global_load_b128 v[48:51], v59, s[10:11] offset:7728
	;; [unrolled: 1-line block ×4, first 2 shown]
	ds_load_2addr_b64 v[133:136], v114 offset0:12 offset1:255
	ds_load_2addr_b64 v[137:140], v112 offset0:8 offset1:251
	;; [unrolled: 1-line block ×4, first 2 shown]
	ds_load_2addr_b64 v[149:152], v109 offset1:243
	ds_load_2addr_b64 v[153:156], v115 offset0:6 offset1:249
	s_wait_loadcnt_dscnt 0x305
	v_mul_f32_e32 v130, v133, v53
	s_wait_dscnt 0x4
	v_dual_mul_f32 v160, v137, v55 :: v_dual_mul_f32 v129, v134, v53
	s_wait_loadcnt 0x2
	v_dual_mul_f32 v158, v135, v49 :: v_dual_mul_f32 v159, v138, v55
	v_mul_f32_e32 v162, v139, v51
	v_fmac_f32_e32 v130, v134, v52
	v_fmac_f32_e32 v160, v138, v54
	s_wait_loadcnt_dscnt 0x3
	v_mul_f32_e32 v138, v144, v73
	v_mul_f32_e32 v157, v136, v49
	v_fmac_f32_e32 v158, v136, v48
	v_mul_f32_e32 v134, v142, v57
	v_fma_f32 v136, v137, v54, -v159
	v_mul_f32_e32 v161, v140, v51
	v_fmac_f32_e32 v162, v140, v50
	s_wait_dscnt 0x2
	v_mul_f32_e32 v140, v148, v75
	v_fma_f32 v129, v133, v52, -v129
	v_fma_f32 v133, v135, v48, -v157
	v_mul_f32_e32 v157, v141, v57
	v_mul_f32_e32 v159, v147, v75
	;; [unrolled: 1-line block ×3, first 2 shown]
	v_fma_f32 v141, v141, v56, -v134
	s_wait_dscnt 0x1
	v_add_f32_e32 v134, v150, v130
	v_dual_fmac_f32 v159, v148, v74 :: v_dual_sub_f32 v148, v129, v136
	v_fma_f32 v137, v139, v50, -v161
	v_mul_f32_e32 v135, v146, v59
	s_delay_alu instid0(VALU_DEP_4) | instskip(SKIP_2) | instid1(VALU_DEP_3)
	v_dual_mul_f32 v139, v143, v73 :: v_dual_add_f32 v134, v134, v160
	v_fma_f32 v143, v143, v72, -v138
	v_dual_add_f32 v138, v152, v158 :: v_dual_fmac_f32 v157, v142, v56
	v_fmac_f32_e32 v139, v144, v72
	v_fma_f32 v144, v147, v74, -v140
	v_sub_f32_e32 v147, v130, v160
	v_add_f32_e32 v130, v130, v160
	s_wait_dscnt 0x0
	v_dual_sub_f32 v161, v158, v162 :: v_dual_add_f32 v140, v153, v141
	v_add_f32_e32 v160, v154, v157
	v_dual_fmac_f32 v163, v146, v58 :: v_dual_add_f32 v166, v139, v159
	v_add_f32_e32 v146, v158, v162
	v_add_f32_e32 v158, v133, v137
	v_fma_f32 v142, v145, v58, -v135
	v_add_f32_e32 v135, v149, v129
	s_delay_alu instid0(VALU_DEP_4) | instskip(SKIP_1) | instid1(VALU_DEP_3)
	v_dual_add_f32 v145, v129, v136 :: v_dual_fmac_f32 v152, -0.5, v146
	v_add_f32_e32 v129, v151, v133
	v_dual_sub_f32 v164, v133, v137 :: v_dual_add_f32 v133, v135, v136
	v_add_f32_e32 v136, v138, v162
	v_add_f32_e32 v162, v157, v163
	v_sub_f32_e32 v157, v157, v163
	v_add_f32_e32 v138, v160, v163
	v_add_f32_e32 v160, v141, v142
	;; [unrolled: 1-line block ×4, first 2 shown]
	v_sub_f32_e32 v163, v141, v142
	v_fma_f32 v142, -0.5, v130, v150
	v_add_f32_e32 v129, v156, v139
	v_sub_f32_e32 v165, v139, v159
	v_sub_f32_e32 v167, v143, v144
	v_fma_f32 v141, -0.5, v145, v149
	v_fmamk_f32 v146, v148, 0xbf5db3d7, v142
	v_fmac_f32_e32 v142, 0x3f5db3d7, v148
	v_add_f32_e32 v140, v129, v159
	v_dual_add_f32 v129, v155, v143 :: v_dual_fmamk_f32 v148, v164, 0xbf5db3d7, v152
	v_add_f32_e32 v159, v143, v144
	v_fma_f32 v151, -0.5, v158, v151
	v_fma_f32 v143, -0.5, v160, v153
	s_delay_alu instid0(VALU_DEP_4) | instskip(SKIP_4) | instid1(VALU_DEP_4)
	v_add_f32_e32 v139, v129, v144
	v_fma_f32 v144, -0.5, v162, v154
	v_dual_fmac_f32 v156, -0.5, v166 :: v_dual_fmamk_f32 v145, v147, 0x3f5db3d7, v141
	v_fmac_f32_e32 v141, 0xbf5db3d7, v147
	v_add_nc_u32_e32 v129, 0x4400, v109
	v_fmamk_f32 v150, v163, 0xbf5db3d7, v144
	v_fmac_f32_e32 v144, 0x3f5db3d7, v163
	v_fma_f32 v155, -0.5, v159, v155
	v_fmamk_f32 v147, v161, 0x3f5db3d7, v151
	v_fmac_f32_e32 v151, 0xbf5db3d7, v161
	v_dual_fmac_f32 v152, 0x3f5db3d7, v164 :: v_dual_fmamk_f32 v149, v157, 0x3f5db3d7, v143
	v_fmac_f32_e32 v143, 0xbf5db3d7, v157
	v_add_nc_u32_e32 v130, 0x25c0, v109
	v_fmamk_f32 v153, v165, 0x3f5db3d7, v155
	v_dual_fmac_f32 v155, 0xbf5db3d7, v165 :: v_dual_fmamk_f32 v154, v167, 0xbf5db3d7, v156
	v_fmac_f32_e32 v156, 0x3f5db3d7, v167
	ds_store_b64 v109, v[145:146] offset:7776
	ds_store_b64 v109, v[141:142] offset:15552
	ds_store_2addr_b64 v109, v[133:134], v[135:136] offset1:243
	ds_store_2addr_b64 v129, v[151:152], v[143:144] offset0:11 offset1:254
	ds_store_2addr_b64 v130, v[147:148], v[149:150] offset0:7 offset1:250
	;; [unrolled: 1-line block ×3, first 2 shown]
	ds_store_b64 v109, v[155:156] offset:21384
	ds_store_b64 v109, v[153:154] offset:13608
	global_wb scope:SCOPE_SE
	s_wait_dscnt 0x0
	s_barrier_signal -1
	s_barrier_wait -1
	global_inv scope:SCOPE_SE
	s_clause 0xb
	global_load_b64 v[137:138], v109, s[8:9] offset:23328
	global_load_b64 v[139:140], v109, s[2:3] offset:1944
	;; [unrolled: 1-line block ×12, first 2 shown]
	ds_load_2addr_b64 v[133:136], v109 offset1:243
	s_mov_b32 s2, 0xe0bf08c7
	s_mov_b32 s3, 0x3f367980
	s_wait_loadcnt_dscnt 0xb00
	v_mul_f32_e32 v161, v134, v138
	v_mul_f32_e32 v162, v133, v138
	s_wait_loadcnt 0xa
	v_mul_f32_e32 v138, v135, v140
	s_delay_alu instid0(VALU_DEP_3) | instskip(NEXT) | instid1(VALU_DEP_3)
	v_fma_f32 v161, v133, v137, -v161
	v_dual_fmac_f32 v162, v134, v137 :: v_dual_mul_f32 v133, v136, v140
	s_delay_alu instid0(VALU_DEP_3)
	v_fmac_f32_e32 v138, v136, v139
	ds_store_b64 v109, v[161:162]
	v_fma_f32 v137, v135, v139, -v133
	ds_load_2addr_b64 v[133:136], v115 offset0:6 offset1:249
	s_wait_loadcnt_dscnt 0x900
	v_mul_f32_e32 v139, v134, v142
	s_wait_loadcnt 0x8
	v_dual_mul_f32 v140, v133, v142 :: v_dual_mul_f32 v161, v136, v144
	v_mul_f32_e32 v142, v135, v144
	s_delay_alu instid0(VALU_DEP_3) | instskip(NEXT) | instid1(VALU_DEP_3)
	v_fma_f32 v139, v133, v141, -v139
	v_fmac_f32_e32 v140, v134, v141
	s_delay_alu instid0(VALU_DEP_4) | instskip(NEXT) | instid1(VALU_DEP_4)
	v_fma_f32 v141, v135, v143, -v161
	v_fmac_f32_e32 v142, v136, v143
	ds_load_2addr_b64 v[133:136], v114 offset0:12 offset1:255
	s_wait_loadcnt_dscnt 0x700
	v_mul_f32_e32 v143, v134, v146
	s_wait_loadcnt 0x6
	v_dual_mul_f32 v144, v133, v146 :: v_dual_mul_f32 v161, v136, v148
	v_mul_f32_e32 v146, v135, v148
	s_delay_alu instid0(VALU_DEP_3) | instskip(NEXT) | instid1(VALU_DEP_3)
	v_fma_f32 v143, v133, v145, -v143
	v_fmac_f32_e32 v144, v134, v145
	s_delay_alu instid0(VALU_DEP_4) | instskip(NEXT) | instid1(VALU_DEP_4)
	v_fma_f32 v145, v135, v147, -v161
	v_fmac_f32_e32 v146, v136, v147
	;; [unrolled: 12-line block ×3, first 2 shown]
	ds_load_2addr_b64 v[133:136], v112 offset0:8 offset1:251
	s_wait_loadcnt_dscnt 0x300
	v_mul_f32_e32 v152, v133, v154
	v_mul_f32_e32 v151, v134, v154
	s_wait_loadcnt 0x2
	v_mul_f32_e32 v161, v136, v156
	v_mul_f32_e32 v154, v135, v156
	v_fmac_f32_e32 v152, v134, v153
	s_delay_alu instid0(VALU_DEP_2)
	v_fmac_f32_e32 v154, v136, v155
	v_fma_f32 v151, v133, v153, -v151
	v_fma_f32 v153, v135, v155, -v161
	ds_load_2addr_b64 v[133:136], v111 offset0:6 offset1:249
	s_wait_loadcnt_dscnt 0x100
	v_mul_f32_e32 v156, v133, v158
	s_wait_loadcnt 0x0
	v_dual_mul_f32 v155, v134, v158 :: v_dual_mul_f32 v158, v136, v160
	s_delay_alu instid0(VALU_DEP_2) | instskip(SKIP_1) | instid1(VALU_DEP_3)
	v_fmac_f32_e32 v156, v134, v157
	v_mul_f32_e32 v134, v135, v160
	v_fma_f32 v155, v133, v157, -v155
	v_add_nc_u32_e32 v157, 0x780, v109
	v_fma_f32 v133, v135, v159, -v158
	s_delay_alu instid0(VALU_DEP_4)
	v_dual_fmac_f32 v134, v136, v159 :: v_dual_add_nc_u32 v135, 0x1680, v109
	v_add_nc_u32_e32 v136, 0x3500, v109
	ds_store_2addr_b64 v157, v[137:138], v[139:140] offset0:3 offset1:246
	ds_store_2addr_b64 v135, v[141:142], v[143:144] offset0:9 offset1:252
	;; [unrolled: 1-line block ×5, first 2 shown]
	ds_store_b64 v109, v[133:134] offset:21384
	global_wb scope:SCOPE_SE
	s_wait_dscnt 0x0
	s_barrier_signal -1
	s_barrier_wait -1
	global_inv scope:SCOPE_SE
	ds_load_2addr_b64 v[133:136], v109 offset1:243
	ds_load_2addr_b64 v[137:140], v114 offset0:12 offset1:255
	ds_load_2addr_b64 v[141:144], v112 offset0:8 offset1:251
	ds_load_2addr_b64 v[145:148], v113 offset0:2 offset1:245
	s_wait_dscnt 0x2
	v_add_f32_e32 v149, v133, v137
	s_wait_dscnt 0x1
	v_sub_f32_e32 v155, v138, v142
	v_dual_add_f32 v150, v134, v138 :: v_dual_add_f32 v153, v137, v141
	v_dual_add_f32 v154, v138, v142 :: v_dual_add_f32 v157, v139, v143
	v_dual_sub_f32 v156, v137, v141 :: v_dual_add_f32 v159, v140, v144
	v_dual_add_f32 v151, v135, v139 :: v_dual_add_f32 v152, v136, v140
	v_dual_sub_f32 v158, v140, v144 :: v_dual_add_f32 v149, v149, v141
	v_sub_f32_e32 v160, v139, v143
	ds_load_2addr_b64 v[137:140], v111 offset0:6 offset1:249
	v_dual_add_f32 v150, v150, v142 :: v_dual_add_f32 v151, v151, v143
	v_fma_f32 v133, -0.5, v153, v133
	v_fma_f32 v134, -0.5, v154, v134
	s_wait_dscnt 0x0
	v_dual_fmac_f32 v136, -0.5, v159 :: v_dual_add_f32 v161, v145, v137
	v_add_f32_e32 v162, v146, v138
	v_add_f32_e32 v152, v152, v144
	ds_load_2addr_b64 v[141:144], v115 offset0:6 offset1:249
	v_dual_sub_f32 v163, v145, v137 :: v_dual_sub_f32 v164, v146, v138
	global_wb scope:SCOPE_SE
	s_wait_dscnt 0x0
	s_barrier_signal -1
	s_barrier_wait -1
	global_inv scope:SCOPE_SE
	v_add_f32_e32 v167, v144, v148
	v_dual_add_f32 v165, v143, v147 :: v_dual_add_f32 v168, v148, v140
	v_dual_add_f32 v145, v141, v145 :: v_dual_add_f32 v146, v142, v146
	v_add_f32_e32 v166, v147, v139
	v_sub_f32_e32 v147, v147, v139
	s_delay_alu instid0(VALU_DEP_4) | instskip(NEXT) | instid1(VALU_DEP_4)
	v_add_f32_e32 v139, v165, v139
	v_dual_add_f32 v145, v145, v137 :: v_dual_fmac_f32 v144, -0.5, v168
	v_sub_f32_e32 v148, v148, v140
	v_add_f32_e32 v146, v146, v138
	v_add_f32_e32 v140, v167, v140
	v_fma_f32 v142, -0.5, v162, v142
	v_fmamk_f32 v165, v147, 0x3f5db3d7, v144
	v_fmac_f32_e32 v144, 0xbf5db3d7, v147
	v_fma_f32 v147, -0.5, v161, v141
	v_fma_f32 v161, -0.5, v166, v143
	v_dual_add_f32 v137, v149, v145 :: v_dual_add_f32 v138, v150, v146
	v_sub_f32_e32 v143, v149, v145
	v_dual_fmamk_f32 v149, v155, 0xbf5db3d7, v133 :: v_dual_mul_f32 v162, 0xbf5db3d7, v144
	v_dual_mul_f32 v166, -0.5, v144 :: v_dual_fmac_f32 v133, 0x3f5db3d7, v155
	v_sub_f32_e32 v144, v150, v146
	v_fmamk_f32 v150, v164, 0xbf5db3d7, v147
	v_add_f32_e32 v146, v152, v140
	v_sub_f32_e32 v152, v152, v140
	v_dual_fmac_f32 v147, 0x3f5db3d7, v164 :: v_dual_fmamk_f32 v140, v163, 0x3f5db3d7, v142
	v_fmac_f32_e32 v142, 0xbf5db3d7, v163
	v_add_f32_e32 v145, v151, v139
	v_sub_f32_e32 v151, v151, v139
	s_delay_alu instid0(VALU_DEP_3) | instskip(NEXT) | instid1(VALU_DEP_1)
	v_mul_f32_e32 v155, 0xbf5db3d7, v142
	v_fmac_f32_e32 v155, -0.5, v147
	v_mul_f32_e32 v153, 0xbf5db3d7, v140
	s_delay_alu instid0(VALU_DEP_2) | instskip(NEXT) | instid1(VALU_DEP_2)
	v_add_f32_e32 v141, v133, v155
	v_fmac_f32_e32 v153, 0.5, v150
	s_delay_alu instid0(VALU_DEP_1) | instskip(SKIP_4) | instid1(VALU_DEP_1)
	v_add_f32_e32 v139, v149, v153
	v_sub_f32_e32 v153, v149, v153
	v_fmamk_f32 v149, v156, 0x3f5db3d7, v134
	v_dual_fmac_f32 v134, 0xbf5db3d7, v156 :: v_dual_sub_f32 v155, v133, v155
	v_mul_f32_e32 v133, 0.5, v140
	v_fmac_f32_e32 v133, 0x3f5db3d7, v150
	s_delay_alu instid0(VALU_DEP_1) | instskip(SKIP_1) | instid1(VALU_DEP_1)
	v_add_f32_e32 v140, v149, v133
	v_dual_sub_f32 v154, v149, v133 :: v_dual_mul_f32 v133, -0.5, v142
	v_fmac_f32_e32 v133, 0x3f5db3d7, v147
	s_delay_alu instid0(VALU_DEP_1)
	v_add_f32_e32 v142, v134, v133
	v_dual_sub_f32 v156, v134, v133 :: v_dual_fmamk_f32 v133, v148, 0xbf5db3d7, v161
	v_fma_f32 v134, -0.5, v157, v135
	v_fmac_f32_e32 v161, 0x3f5db3d7, v148
	v_fmamk_f32 v157, v160, 0x3f5db3d7, v136
	v_fmac_f32_e32 v136, 0xbf5db3d7, v160
	s_delay_alu instid0(VALU_DEP_4)
	v_fmamk_f32 v135, v158, 0xbf5db3d7, v134
	v_fmac_f32_e32 v134, 0x3f5db3d7, v158
	v_mul_f32_e32 v158, 0xbf5db3d7, v165
	v_fmac_f32_e32 v166, 0x3f5db3d7, v161
	v_mul_f32_e32 v159, 0.5, v165
	v_fmac_f32_e32 v162, -0.5, v161
	s_delay_alu instid0(VALU_DEP_4) | instskip(NEXT) | instid1(VALU_DEP_3)
	v_fmac_f32_e32 v158, 0.5, v133
	v_dual_add_f32 v150, v136, v166 :: v_dual_fmac_f32 v159, 0x3f5db3d7, v133
	v_sub_f32_e32 v136, v136, v166
	s_delay_alu instid0(VALU_DEP_4) | instskip(NEXT) | instid1(VALU_DEP_4)
	v_add_f32_e32 v149, v134, v162
	v_add_f32_e32 v147, v135, v158
	s_delay_alu instid0(VALU_DEP_4)
	v_dual_sub_f32 v133, v135, v158 :: v_dual_add_f32 v148, v157, v159
	v_dual_sub_f32 v135, v134, v162 :: v_dual_sub_f32 v134, v157, v159
	ds_store_b128 v132, v[137:140]
	ds_store_b128 v132, v[141:144] offset:16
	ds_store_b128 v132, v[153:156] offset:32
	ds_store_b128 v131, v[145:148]
	ds_store_b128 v131, v[149:152] offset:16
	ds_store_b128 v131, v[133:136] offset:32
	global_wb scope:SCOPE_SE
	s_wait_dscnt 0x0
	s_barrier_signal -1
	s_barrier_wait -1
	global_inv scope:SCOPE_SE
	ds_load_2addr_b64 v[131:134], v115 offset0:6 offset1:249
	ds_load_2addr_b64 v[135:138], v114 offset0:12 offset1:255
	;; [unrolled: 1-line block ×5, first 2 shown]
	ds_load_2addr_b64 v[151:154], v109 offset1:243
	global_wb scope:SCOPE_SE
	s_wait_dscnt 0x0
	s_barrier_signal -1
	s_barrier_wait -1
	global_inv scope:SCOPE_SE
	v_dual_mul_f32 v155, v77, v132 :: v_dual_mul_f32 v158, v71, v138
	v_dual_mul_f32 v77, v77, v131 :: v_dual_mul_f32 v156, v79, v136
	v_mul_f32_e32 v79, v79, v135
	v_mul_f32_e32 v157, v69, v134
	;; [unrolled: 1-line block ×4, first 2 shown]
	v_fmac_f32_e32 v155, v76, v131
	v_fmac_f32_e32 v156, v78, v135
	;; [unrolled: 1-line block ×3, first 2 shown]
	v_fma_f32 v76, v76, v132, -v77
	v_fma_f32 v77, v78, v136, -v79
	v_mul_f32_e32 v78, v61, v140
	v_dual_mul_f32 v61, v61, v139 :: v_dual_mul_f32 v132, v108, v150
	v_dual_mul_f32 v108, v108, v149 :: v_dual_mul_f32 v79, v63, v144
	s_delay_alu instid0(VALU_DEP_3)
	v_fmac_f32_e32 v78, v60, v139
	v_mul_f32_e32 v63, v63, v143
	v_fmac_f32_e32 v157, v68, v133
	v_fma_f32 v70, v70, v138, -v71
	v_mul_f32_e32 v71, v106, v148
	v_mul_f32_e32 v106, v106, v147
	v_fma_f32 v68, v68, v134, -v69
	v_fma_f32 v60, v60, v140, -v61
	v_dual_mul_f32 v69, v65, v142 :: v_dual_fmac_f32 v132, v107, v149
	v_dual_mul_f32 v65, v65, v141 :: v_dual_add_f32 v134, v155, v78
	v_fma_f32 v61, v62, v144, -v63
	s_delay_alu instid0(VALU_DEP_3) | instskip(SKIP_1) | instid1(VALU_DEP_4)
	v_fmac_f32_e32 v69, v64, v141
	v_fmac_f32_e32 v79, v62, v143
	v_fma_f32 v62, v64, v142, -v65
	v_fma_f32 v64, v105, v148, -v106
	;; [unrolled: 1-line block ×3, first 2 shown]
	v_add_f32_e32 v144, v153, v158
	v_dual_fmac_f32 v71, v105, v147 :: v_dual_add_f32 v106, v152, v77
	s_delay_alu instid0(VALU_DEP_4) | instskip(NEXT) | instid1(VALU_DEP_4)
	v_add_f32_e32 v108, v60, v64
	v_dual_add_f32 v140, v62, v65 :: v_dual_mul_f32 v131, v67, v146
	v_dual_mul_f32 v67, v67, v145 :: v_dual_sub_f32 v136, v60, v64
	s_delay_alu instid0(VALU_DEP_4) | instskip(SKIP_1) | instid1(VALU_DEP_4)
	v_add_f32_e32 v135, v78, v71
	v_sub_f32_e32 v78, v78, v71
	v_fmac_f32_e32 v131, v66, v145
	s_delay_alu instid0(VALU_DEP_4)
	v_fma_f32 v63, v66, v146, -v67
	v_add_f32_e32 v66, v151, v156
	v_add_f32_e32 v133, v76, v60
	v_dual_fmac_f32 v76, -0.5, v108 :: v_dual_add_f32 v107, v77, v61
	v_sub_f32_e32 v142, v158, v131
	v_add_f32_e32 v60, v70, v63
	v_dual_add_f32 v137, v154, v70 :: v_dual_add_f32 v138, v69, v132
	v_add_f32_e32 v67, v156, v79
	v_add_f32_e32 v139, v157, v69
	v_dual_add_f32 v141, v68, v62 :: v_dual_add_f32 v66, v66, v79
	v_dual_sub_f32 v105, v156, v79 :: v_dual_add_f32 v64, v133, v64
	v_fma_f32 v133, -0.5, v107, v152
	v_dual_add_f32 v143, v158, v131 :: v_dual_fmac_f32 v68, -0.5, v140
	v_add_f32_e32 v71, v134, v71
	v_sub_f32_e32 v69, v69, v132
	v_dual_sub_f32 v77, v77, v61 :: v_dual_sub_f32 v70, v70, v63
	v_sub_f32_e32 v62, v62, v65
	v_fma_f32 v108, -0.5, v67, v151
	v_dual_fmac_f32 v154, -0.5, v60 :: v_dual_add_f32 v79, v106, v61
	v_add_f32_e32 v106, v139, v132
	v_fmamk_f32 v132, v78, 0x3f5db3d7, v76
	v_add_f32_e32 v60, v66, v71
	v_dual_fmac_f32 v155, -0.5, v135 :: v_dual_fmamk_f32 v140, v69, 0x3f5db3d7, v68
	v_dual_fmac_f32 v68, 0xbf5db3d7, v69 :: v_dual_fmac_f32 v157, -0.5, v138
	v_fmamk_f32 v138, v105, 0x3f5db3d7, v133
	v_fma_f32 v134, -0.5, v143, v153
	v_dual_add_f32 v67, v144, v131 :: v_dual_fmac_f32 v76, 0xbf5db3d7, v78
	v_add_f32_e32 v107, v141, v65
	v_add_f32_e32 v131, v137, v63
	v_fmamk_f32 v135, v136, 0xbf5db3d7, v155
	v_fmamk_f32 v137, v77, 0xbf5db3d7, v108
	v_fmamk_f32 v139, v142, 0x3f5db3d7, v154
	v_dual_fmac_f32 v154, 0xbf5db3d7, v142 :: v_dual_sub_f32 v63, v79, v64
	v_fmac_f32_e32 v155, 0x3f5db3d7, v136
	v_fmamk_f32 v136, v70, 0xbf5db3d7, v134
	v_fmac_f32_e32 v134, 0x3f5db3d7, v70
	v_mul_f32_e32 v70, 0xbf5db3d7, v132
	v_dual_add_f32 v61, v79, v64 :: v_dual_fmac_f32 v108, 0x3f5db3d7, v77
	v_fmamk_f32 v69, v62, 0xbf5db3d7, v157
	s_delay_alu instid0(VALU_DEP_3)
	v_dual_fmac_f32 v157, 0x3f5db3d7, v62 :: v_dual_fmac_f32 v70, 0.5, v135
	v_sub_f32_e32 v62, v66, v71
	v_add_f32_e32 v64, v67, v106
	v_sub_f32_e32 v66, v67, v106
	v_sub_f32_e32 v67, v131, v107
	v_mul_f32_e32 v141, 0xbf5db3d7, v140
	v_dual_mul_f32 v140, 0.5, v140 :: v_dual_add_f32 v65, v131, v107
	v_mul_f32_e32 v131, 0xbf5db3d7, v68
	v_mul_f32_e32 v107, 0xbf5db3d7, v76
	v_mul_f32_e32 v76, -0.5, v76
	s_delay_alu instid0(VALU_DEP_4) | instskip(SKIP_3) | instid1(VALU_DEP_2)
	v_fmac_f32_e32 v140, 0x3f5db3d7, v69
	v_dual_fmac_f32 v133, 0xbf5db3d7, v105 :: v_dual_sub_f32 v78, v137, v70
	v_fmac_f32_e32 v131, -0.5, v157
	v_dual_mul_f32 v77, -0.5, v68 :: v_dual_add_f32 v68, v137, v70
	v_dual_fmac_f32 v141, 0.5, v69 :: v_dual_add_f32 v70, v134, v131
	v_dual_mul_f32 v79, 0.5, v132 :: v_dual_fmac_f32 v76, 0x3f5db3d7, v155
	v_dual_fmac_f32 v107, -0.5, v155 :: v_dual_add_f32 v132, v139, v140
	s_delay_alu instid0(VALU_DEP_2) | instskip(NEXT) | instid1(VALU_DEP_2)
	v_dual_fmac_f32 v79, 0x3f5db3d7, v135 :: v_dual_add_f32 v106, v133, v76
	v_add_f32_e32 v105, v108, v107
	v_dual_sub_f32 v107, v108, v107 :: v_dual_sub_f32 v108, v133, v76
	v_dual_sub_f32 v76, v134, v131 :: v_dual_fmac_f32 v77, 0x3f5db3d7, v157
	s_delay_alu instid0(VALU_DEP_4)
	v_add_f32_e32 v69, v138, v79
	v_sub_f32_e32 v79, v138, v79
	v_add_f32_e32 v131, v136, v141
	v_sub_f32_e32 v133, v136, v141
	v_add_f32_e32 v71, v154, v77
	v_dual_sub_f32 v77, v154, v77 :: v_dual_sub_f32 v134, v139, v140
	ds_store_2addr_b64 v124, v[60:61], v[68:69] offset1:6
	ds_store_2addr_b64 v124, v[105:106], v[62:63] offset0:12 offset1:18
	ds_store_2addr_b64 v124, v[78:79], v[107:108] offset0:24 offset1:30
	ds_store_2addr_b64 v125, v[64:65], v[131:132] offset1:6
	ds_store_2addr_b64 v125, v[70:71], v[66:67] offset0:12 offset1:18
	ds_store_2addr_b64 v125, v[133:134], v[76:77] offset0:24 offset1:30
	global_wb scope:SCOPE_SE
	s_wait_dscnt 0x0
	s_barrier_signal -1
	s_barrier_wait -1
	global_inv scope:SCOPE_SE
	ds_load_2addr_b64 v[60:63], v114 offset0:12 offset1:255
	ds_load_2addr_b64 v[64:67], v112 offset0:8 offset1:251
	ds_load_2addr_b64 v[68:71], v113 offset0:2 offset1:245
	ds_load_2addr_b64 v[76:79], v111 offset0:6 offset1:249
	ds_load_2addr_b64 v[105:108], v109 offset1:243
	ds_load_2addr_b64 v[131:134], v115 offset0:6 offset1:249
	global_wb scope:SCOPE_SE
	s_wait_dscnt 0x0
	s_barrier_signal -1
	s_barrier_wait -1
	global_inv scope:SCOPE_SE
	v_mul_f32_e32 v124, v45, v61
	v_mul_f32_e32 v135, v41, v63
	v_dual_mul_f32 v139, v33, v71 :: v_dual_mul_f32 v138, v39, v77
	v_dual_mul_f32 v33, v33, v70 :: v_dual_mul_f32 v136, v43, v67
	s_delay_alu instid0(VALU_DEP_4) | instskip(NEXT) | instid1(VALU_DEP_3)
	v_fmac_f32_e32 v124, v44, v60
	v_fmac_f32_e32 v139, v32, v70
	v_mul_f32_e32 v39, v39, v76
	s_delay_alu instid0(VALU_DEP_4) | instskip(SKIP_2) | instid1(VALU_DEP_4)
	v_fma_f32 v32, v32, v71, -v33
	v_dual_fmac_f32 v138, v38, v76 :: v_dual_fmac_f32 v135, v40, v62
	v_mul_f32_e32 v140, v35, v79
	v_fma_f32 v39, v38, v77, -v39
	v_mul_f32_e32 v137, v37, v69
	v_dual_mul_f32 v37, v37, v68 :: v_dual_fmac_f32 v136, v42, v66
	s_delay_alu instid0(VALU_DEP_4) | instskip(SKIP_1) | instid1(VALU_DEP_4)
	v_fmac_f32_e32 v140, v34, v78
	v_add_f32_e32 v71, v134, v32
	v_fmac_f32_e32 v137, v36, v68
	v_mul_f32_e32 v41, v41, v62
	v_fma_f32 v36, v36, v69, -v37
	v_mul_f32_e32 v43, v43, v66
	s_delay_alu instid0(VALU_DEP_4) | instskip(NEXT) | instid1(VALU_DEP_4)
	v_add_f32_e32 v62, v131, v137
	v_fma_f32 v40, v40, v63, -v41
	v_mul_f32_e32 v125, v47, v65
	s_delay_alu instid0(VALU_DEP_4) | instskip(SKIP_1) | instid1(VALU_DEP_2)
	v_fma_f32 v41, v42, v67, -v43
	v_dual_mul_f32 v45, v45, v60 :: v_dual_add_f32 v66, v36, v39
	v_dual_fmac_f32 v125, v46, v64 :: v_dual_sub_f32 v60, v40, v41
	v_add_f32_e32 v33, v105, v124
	v_mul_f32_e32 v35, v35, v78
	s_delay_alu instid0(VALU_DEP_4) | instskip(SKIP_1) | instid1(VALU_DEP_3)
	v_fma_f32 v44, v44, v61, -v45
	v_dual_mul_f32 v47, v47, v64 :: v_dual_sub_f32 v64, v36, v39
	v_fma_f32 v43, v34, v79, -v35
	v_add_f32_e32 v34, v124, v125
	s_delay_alu instid0(VALU_DEP_3) | instskip(NEXT) | instid1(VALU_DEP_3)
	v_fma_f32 v45, v46, v65, -v47
	v_add_f32_e32 v76, v32, v43
	s_delay_alu instid0(VALU_DEP_3) | instskip(NEXT) | instid1(VALU_DEP_3)
	v_fma_f32 v34, -0.5, v34, v105
	v_sub_f32_e32 v46, v44, v45
	v_add_f32_e32 v37, v44, v45
	v_sub_f32_e32 v70, v32, v43
	v_fmac_f32_e32 v134, -0.5, v76
	v_sub_f32_e32 v61, v135, v136
	v_add_f32_e32 v35, v106, v44
	v_add_f32_e32 v44, v108, v40
	;; [unrolled: 1-line block ×6, first 2 shown]
	v_fma_f32 v35, -0.5, v37, v106
	v_dual_add_f32 v37, v44, v41 :: v_dual_fmamk_f32 v44, v46, 0xbf5db3d7, v34
	v_dual_add_f32 v69, v139, v140 :: v_dual_add_f32 v40, v40, v41
	v_dual_add_f32 v68, v133, v139 :: v_dual_sub_f32 v77, v139, v140
	v_add_f32_e32 v65, v132, v36
	v_add_f32_e32 v36, v38, v136
	;; [unrolled: 1-line block ×4, first 2 shown]
	v_fma_f32 v133, -0.5, v69, v133
	v_dual_fmac_f32 v34, 0x3f5db3d7, v46 :: v_dual_sub_f32 v47, v124, v125
	v_fma_f32 v107, -0.5, v42, v107
	v_fmac_f32_e32 v108, -0.5, v40
	s_delay_alu instid0(VALU_DEP_4)
	v_fmamk_f32 v62, v70, 0xbf5db3d7, v133
	v_add_f32_e32 v42, v68, v140
	v_fma_f32 v40, -0.5, v63, v131
	v_sub_f32_e32 v67, v137, v138
	v_fma_f32 v41, -0.5, v66, v132
	v_fmamk_f32 v45, v47, 0x3f5db3d7, v35
	v_fmac_f32_e32 v35, 0xbf5db3d7, v47
	v_fmamk_f32 v46, v60, 0xbf5db3d7, v107
	v_fmac_f32_e32 v107, 0x3f5db3d7, v60
	v_fmamk_f32 v60, v64, 0xbf5db3d7, v40
	v_fmamk_f32 v47, v61, 0x3f5db3d7, v108
	v_dual_fmac_f32 v108, 0xbf5db3d7, v61 :: v_dual_add_f32 v43, v71, v43
	v_dual_fmac_f32 v40, 0x3f5db3d7, v64 :: v_dual_fmamk_f32 v61, v67, 0x3f5db3d7, v41
	v_fmac_f32_e32 v41, 0xbf5db3d7, v67
	v_fmamk_f32 v63, v77, 0x3f5db3d7, v134
	v_dual_fmac_f32 v134, 0xbf5db3d7, v77 :: v_dual_add_f32 v39, v65, v39
	v_fmac_f32_e32 v133, 0x3f5db3d7, v70
	ds_store_2addr_b64 v117, v[32:33], v[44:45] offset1:36
	ds_store_b64 v117, v[34:35] offset:576
	ds_store_2addr_b64 v119, v[36:37], v[46:47] offset1:36
	ds_store_b64 v119, v[107:108] offset:576
	;; [unrolled: 2-line block ×4, first 2 shown]
	global_wb scope:SCOPE_SE
	s_wait_dscnt 0x0
	s_barrier_signal -1
	s_barrier_wait -1
	global_inv scope:SCOPE_SE
	ds_load_2addr_b64 v[32:35], v114 offset0:12 offset1:255
	ds_load_2addr_b64 v[36:39], v112 offset0:8 offset1:251
	;; [unrolled: 1-line block ×4, first 2 shown]
	ds_load_2addr_b64 v[60:63], v109 offset1:243
	ds_load_2addr_b64 v[64:67], v115 offset0:6 offset1:249
	global_wb scope:SCOPE_SE
	s_wait_dscnt 0x0
	s_barrier_signal -1
	s_barrier_wait -1
	global_inv scope:SCOPE_SE
	v_mul_f32_e32 v68, v13, v33
	v_mul_f32_e32 v70, v9, v35
	v_mul_f32_e32 v76, v5, v41
	v_mul_f32_e32 v78, v1, v43
	v_mul_f32_e32 v1, v1, v42
	v_dual_mul_f32 v79, v3, v47 :: v_dual_fmac_f32 v68, v12, v32
	s_delay_alu instid0(VALU_DEP_4) | instskip(NEXT) | instid1(VALU_DEP_4)
	v_fmac_f32_e32 v76, v4, v40
	v_fmac_f32_e32 v78, v0, v42
	s_delay_alu instid0(VALU_DEP_4)
	v_fma_f32 v0, v0, v43, -v1
	v_mul_f32_e32 v5, v5, v40
	v_fmac_f32_e32 v79, v2, v46
	v_mul_f32_e32 v77, v7, v45
	v_mul_f32_e32 v9, v9, v34
	v_fmac_f32_e32 v70, v8, v34
	v_fma_f32 v4, v4, v41, -v5
	v_add_f32_e32 v34, v64, v76
	v_fmac_f32_e32 v77, v6, v44
	v_mul_f32_e32 v7, v7, v44
	v_add_f32_e32 v41, v78, v79
	v_add_f32_e32 v40, v66, v78
	v_fma_f32 v8, v8, v35, -v9
	v_add_f32_e32 v43, v67, v0
	v_fma_f32 v7, v6, v45, -v7
	v_mul_f32_e32 v69, v15, v37
	v_mul_f32_e32 v15, v15, v36
	v_fma_f32 v66, -0.5, v41, v66
	v_add_f32_e32 v1, v60, v68
	v_mul_f32_e32 v71, v11, v39
	v_dual_mul_f32 v13, v13, v32 :: v_dual_add_f32 v6, v62, v70
	s_delay_alu instid0(VALU_DEP_2) | instskip(SKIP_2) | instid1(VALU_DEP_4)
	v_fmac_f32_e32 v71, v10, v38
	v_dual_mul_f32 v11, v11, v38 :: v_dual_add_f32 v38, v4, v7
	v_dual_fmac_f32 v69, v14, v36 :: v_dual_sub_f32 v36, v4, v7
	v_fma_f32 v12, v12, v33, -v13
	v_fma_f32 v13, v14, v37, -v15
	v_dual_add_f32 v37, v65, v4 :: v_dual_add_f32 v4, v6, v71
	v_fma_f32 v9, v10, v39, -v11
	v_add_f32_e32 v10, v70, v71
	s_delay_alu instid0(VALU_DEP_4)
	v_sub_f32_e32 v14, v12, v13
	v_add_f32_e32 v5, v12, v13
	v_add_f32_e32 v6, v34, v77
	v_sub_f32_e32 v32, v8, v9
	v_fma_f32 v62, -0.5, v10, v62
	v_mul_f32_e32 v3, v3, v46
	v_add_f32_e32 v7, v37, v7
	s_delay_alu instid0(VALU_DEP_2) | instskip(SKIP_3) | instid1(VALU_DEP_4)
	v_fma_f32 v11, v2, v47, -v3
	v_dual_add_f32 v2, v68, v69 :: v_dual_add_f32 v3, v61, v12
	v_add_f32_e32 v12, v63, v8
	v_add_f32_e32 v8, v8, v9
	v_sub_f32_e32 v42, v0, v11
	s_delay_alu instid0(VALU_DEP_4) | instskip(SKIP_2) | instid1(VALU_DEP_4)
	v_fma_f32 v2, -0.5, v2, v60
	v_add_f32_e32 v44, v0, v11
	v_add_f32_e32 v11, v43, v11
	v_dual_fmac_f32 v63, -0.5, v8 :: v_dual_fmamk_f32 v34, v42, 0xbf5db3d7, v66
	v_dual_fmac_f32 v66, 0x3f5db3d7, v42 :: v_dual_add_f32 v35, v76, v77
	v_add_f32_e32 v0, v1, v69
	v_add_f32_e32 v1, v3, v13
	v_fma_f32 v3, -0.5, v5, v61
	v_add_f32_e32 v5, v12, v9
	v_fma_f32 v8, -0.5, v35, v64
	v_fmamk_f32 v12, v14, 0xbf5db3d7, v2
	v_fmac_f32_e32 v2, 0x3f5db3d7, v14
	v_fmamk_f32 v14, v32, 0xbf5db3d7, v62
	v_fmac_f32_e32 v62, 0x3f5db3d7, v32
	v_fmamk_f32 v32, v36, 0xbf5db3d7, v8
	v_sub_f32_e32 v15, v68, v69
	v_sub_f32_e32 v33, v70, v71
	;; [unrolled: 1-line block ×3, first 2 shown]
	v_fma_f32 v9, -0.5, v38, v65
	v_fmac_f32_e32 v67, -0.5, v44
	v_dual_fmac_f32 v8, 0x3f5db3d7, v36 :: v_dual_sub_f32 v45, v78, v79
	v_fmamk_f32 v13, v15, 0x3f5db3d7, v3
	v_fmac_f32_e32 v3, 0xbf5db3d7, v15
	v_fmamk_f32 v15, v33, 0x3f5db3d7, v63
	v_dual_fmac_f32 v63, 0xbf5db3d7, v33 :: v_dual_add_f32 v10, v40, v79
	v_fmamk_f32 v33, v39, 0x3f5db3d7, v9
	v_fmac_f32_e32 v9, 0xbf5db3d7, v39
	v_fmamk_f32 v35, v45, 0x3f5db3d7, v67
	v_fmac_f32_e32 v67, 0xbf5db3d7, v45
	ds_store_2addr_b64 v121, v[0:1], v[12:13] offset1:108
	ds_store_b64 v121, v[2:3] offset:1728
	ds_store_2addr_b64 v123, v[4:5], v[14:15] offset1:108
	ds_store_b64 v123, v[62:63] offset:1728
	;; [unrolled: 2-line block ×4, first 2 shown]
	global_wb scope:SCOPE_SE
	s_wait_dscnt 0x0
	s_barrier_signal -1
	s_barrier_wait -1
	global_inv scope:SCOPE_SE
	ds_load_2addr_b64 v[2:5], v114 offset0:12 offset1:255
	ds_load_2addr_b64 v[6:9], v112 offset0:8 offset1:251
	ds_load_2addr_b64 v[10:13], v113 offset0:2 offset1:245
	ds_load_2addr_b64 v[32:35], v111 offset0:6 offset1:249
	ds_load_2addr_b64 v[36:39], v109 offset1:243
	ds_load_2addr_b64 v[40:43], v115 offset0:6 offset1:249
	global_wb scope:SCOPE_SE
	s_wait_dscnt 0x0
	s_barrier_signal -1
	s_barrier_wait -1
	global_inv scope:SCOPE_SE
	v_mad_co_u64_u32 v[0:1], null, s6, v104, 0
	v_dual_mul_f32 v14, v25, v3 :: v_dual_mul_f32 v45, v23, v9
	v_dual_mul_f32 v60, v29, v13 :: v_dual_mul_f32 v61, v31, v35
	v_mul_f32_e32 v29, v29, v12
	v_mul_f32_e32 v31, v31, v34
	s_delay_alu instid0(VALU_DEP_4)
	v_fmac_f32_e32 v45, v22, v8
	v_mul_f32_e32 v15, v25, v2
	v_fmac_f32_e32 v61, v30, v34
	v_mul_f32_e32 v25, v27, v7
	v_dual_mul_f32 v27, v27, v6 :: v_dual_fmac_f32 v60, v28, v12
	v_fmac_f32_e32 v14, v24, v2
	v_fma_f32 v2, v24, v3, -v15
	s_delay_alu instid0(VALU_DEP_4) | instskip(NEXT) | instid1(VALU_DEP_4)
	v_fmac_f32_e32 v25, v26, v6
	v_fma_f32 v3, v26, v7, -v27
	v_fma_f32 v6, v28, v13, -v29
	;; [unrolled: 1-line block ×3, first 2 shown]
	v_add_f32_e32 v30, v60, v61
	v_dual_mul_f32 v44, v21, v5 :: v_dual_mul_f32 v23, v23, v8
	v_sub_f32_e32 v15, v2, v3
	v_mul_f32_e32 v21, v21, v4
	v_mul_f32_e32 v46, v17, v11
	;; [unrolled: 1-line block ×4, first 2 shown]
	v_add_f32_e32 v29, v42, v60
	v_sub_f32_e32 v31, v6, v13
	v_fma_f32 v42, -0.5, v30, v42
	v_mul_f32_e32 v19, v19, v32
	v_fmac_f32_e32 v44, v20, v4
	v_fma_f32 v4, v20, v5, -v21
	v_fma_f32 v7, v22, v9, -v23
	v_fmac_f32_e32 v46, v16, v10
	v_fma_f32 v5, v16, v11, -v17
	v_fmac_f32_e32 v47, v18, v32
	v_fma_f32 v9, v18, v33, -v19
	v_add_f32_e32 v10, v14, v25
	v_dual_add_f32 v12, v2, v3 :: v_dual_add_f32 v17, v44, v45
	v_add_f32_e32 v20, v4, v7
	v_add_f32_e32 v8, v36, v14
	;; [unrolled: 1-line block ×6, first 2 shown]
	v_sub_f32_e32 v16, v14, v25
	v_add_f32_e32 v14, v38, v44
	v_dual_sub_f32 v18, v4, v7 :: v_dual_add_f32 v19, v39, v4
	v_sub_f32_e32 v24, v5, v9
	v_add_f32_e32 v26, v41, v5
	v_fma_f32 v4, -0.5, v10, v36
	v_fma_f32 v5, -0.5, v12, v37
	v_sub_f32_e32 v21, v44, v45
	v_add_f32_e32 v22, v40, v46
	v_fma_f32 v38, -0.5, v17, v38
	v_dual_fmac_f32 v39, -0.5, v20 :: v_dual_sub_f32 v28, v46, v47
	v_add_f32_e32 v32, v43, v6
	v_sub_f32_e32 v34, v60, v61
	v_dual_add_f32 v2, v8, v25 :: v_dual_add_f32 v3, v11, v3
	v_fma_f32 v10, -0.5, v23, v40
	v_fma_f32 v11, -0.5, v27, v41
	v_fmac_f32_e32 v43, -0.5, v33
	v_add_f32_e32 v6, v14, v45
	v_fmamk_f32 v14, v15, 0xbf5db3d7, v4
	v_dual_fmac_f32 v4, 0x3f5db3d7, v15 :: v_dual_fmamk_f32 v15, v16, 0x3f5db3d7, v5
	v_fmac_f32_e32 v5, 0xbf5db3d7, v16
	v_add_f32_e32 v7, v19, v7
	v_add_f32_e32 v8, v22, v47
	;; [unrolled: 1-line block ×3, first 2 shown]
	v_fmamk_f32 v16, v18, 0xbf5db3d7, v38
	v_fmamk_f32 v17, v21, 0x3f5db3d7, v39
	v_add_f32_e32 v12, v29, v61
	v_dual_add_f32 v13, v32, v13 :: v_dual_fmac_f32 v38, 0x3f5db3d7, v18
	v_dual_fmac_f32 v39, 0xbf5db3d7, v21 :: v_dual_fmamk_f32 v18, v24, 0xbf5db3d7, v10
	v_dual_fmac_f32 v10, 0x3f5db3d7, v24 :: v_dual_fmamk_f32 v19, v28, 0x3f5db3d7, v11
	;; [unrolled: 1-line block ×4, first 2 shown]
	v_fmac_f32_e32 v43, 0xbf5db3d7, v34
	ds_store_b64 v109, v[2:3]
	ds_store_b64 v109, v[14:15] offset:2592
	ds_store_b64 v109, v[4:5] offset:5184
	ds_store_b64 v128, v[6:7]
	ds_store_b64 v128, v[16:17] offset:2592
	ds_store_b64 v128, v[38:39] offset:5184
	;; [unrolled: 3-line block ×3, first 2 shown]
	ds_store_b64 v126, v[12:13] offset:15552
	ds_store_b64 v126, v[20:21] offset:18144
	;; [unrolled: 1-line block ×3, first 2 shown]
	global_wb scope:SCOPE_SE
	s_wait_dscnt 0x0
	s_barrier_signal -1
	s_barrier_wait -1
	global_inv scope:SCOPE_SE
	ds_load_2addr_b64 v[2:5], v114 offset0:12 offset1:255
	ds_load_2addr_b64 v[6:9], v112 offset0:8 offset1:251
	;; [unrolled: 1-line block ×4, first 2 shown]
	v_mad_co_u64_u32 v[26:27], null, s4, v110, 0
	s_wait_dscnt 0x3
	v_mad_co_u64_u32 v[18:19], null, s7, v104, v[1:2]
	s_wait_dscnt 0x1
	v_mul_f32_e32 v38, v59, v15
	v_mul_f32_e32 v42, v75, v17
	;; [unrolled: 1-line block ×4, first 2 shown]
	s_wait_dscnt 0x0
	v_mul_f32_e32 v40, v73, v13
	v_dual_fmac_f32 v38, v58, v14 :: v_dual_mov_b32 v1, v27
	v_fmac_f32_e32 v42, v74, v16
	v_mul_f32_e32 v30, v55, v7
	v_mul_f32_e32 v36, v57, v11
	;; [unrolled: 1-line block ×3, first 2 shown]
	v_mad_co_u64_u32 v[27:28], null, s5, v110, v[1:2]
	v_mov_b32_e32 v1, v18
	ds_load_2addr_b64 v[18:21], v109 offset1:243
	ds_load_2addr_b64 v[22:25], v115 offset0:6 offset1:249
	v_dual_mul_f32 v28, v53, v3 :: v_dual_mul_f32 v43, v75, v16
	v_fmac_f32_e32 v32, v48, v4
	v_fmac_f32_e32 v34, v50, v8
	v_dual_fmac_f32 v40, v72, v12 :: v_dual_mul_f32 v29, v53, v2
	v_mul_f32_e32 v31, v55, v6
	v_mul_f32_e32 v33, v49, v4
	v_dual_mul_f32 v35, v51, v8 :: v_dual_fmac_f32 v28, v52, v2
	v_fmac_f32_e32 v30, v54, v6
	v_fmac_f32_e32 v36, v56, v10
	v_fma_f32 v6, v72, v13, -v41
	v_fma_f32 v13, v74, v17, -v43
	v_add_f32_e32 v17, v32, v34
	v_add_f32_e32 v44, v40, v42
	v_fma_f32 v2, v52, v3, -v29
	v_fma_f32 v3, v54, v7, -v31
	;; [unrolled: 1-line block ×4, first 2 shown]
	v_add_f32_e32 v35, v36, v38
	s_wait_dscnt 0x0
	v_add_f32_e32 v43, v24, v40
	v_sub_f32_e32 v45, v6, v13
	v_fma_f32 v24, -0.5, v44, v24
	v_dual_mul_f32 v39, v59, v14 :: v_dual_add_f32 v14, v20, v32
	v_fma_f32 v20, -0.5, v17, v20
	v_mul_f32_e32 v37, v57, v10
	v_add_f32_e32 v10, v28, v30
	v_add_f32_e32 v8, v18, v28
	v_sub_f32_e32 v16, v28, v30
	v_sub_f32_e32 v28, v4, v7
	v_fma_f32 v5, v56, v11, -v37
	v_add_f32_e32 v29, v21, v4
	v_add_f32_e32 v31, v4, v7
	;; [unrolled: 1-line block ×3, first 2 shown]
	v_fma_f32 v4, -0.5, v10, v18
	v_fma_f32 v10, -0.5, v35, v22
	v_fmamk_f32 v22, v45, 0xbf5db3d7, v24
	v_fma_f32 v9, v58, v15, -v39
	v_dual_add_f32 v12, v2, v3 :: v_dual_add_f32 v11, v19, v2
	v_add_f32_e32 v47, v6, v13
	v_sub_f32_e32 v15, v2, v3
	s_delay_alu instid0(VALU_DEP_4)
	v_add_f32_e32 v41, v5, v9
	v_sub_f32_e32 v37, v5, v9
	v_add_f32_e32 v39, v23, v5
	v_fma_f32 v5, -0.5, v12, v19
	v_sub_f32_e32 v32, v32, v34
	v_dual_sub_f32 v36, v36, v38 :: v_dual_add_f32 v3, v11, v3
	v_fmac_f32_e32 v21, -0.5, v31
	v_fma_f32 v11, -0.5, v41, v23
	v_add_f32_e32 v46, v25, v6
	v_dual_sub_f32 v40, v40, v42 :: v_dual_fmac_f32 v25, -0.5, v47
	v_add_f32_e32 v6, v14, v34
	v_fmamk_f32 v14, v15, 0xbf5db3d7, v4
	v_dual_fmac_f32 v4, 0x3f5db3d7, v15 :: v_dual_fmamk_f32 v15, v16, 0x3f5db3d7, v5
	v_dual_fmac_f32 v5, 0xbf5db3d7, v16 :: v_dual_add_f32 v2, v8, v30
	v_dual_add_f32 v7, v29, v7 :: v_dual_fmamk_f32 v16, v28, 0xbf5db3d7, v20
	v_fmamk_f32 v17, v32, 0x3f5db3d7, v21
	v_fmamk_f32 v18, v37, 0xbf5db3d7, v10
	v_dual_fmamk_f32 v19, v36, 0x3f5db3d7, v11 :: v_dual_add_f32 v8, v33, v38
	v_add_f32_e32 v9, v39, v9
	v_dual_add_f32 v12, v43, v42 :: v_dual_add_f32 v13, v46, v13
	v_fmac_f32_e32 v20, 0x3f5db3d7, v28
	v_fmac_f32_e32 v21, 0xbf5db3d7, v32
	v_fmac_f32_e32 v10, 0x3f5db3d7, v37
	v_fmac_f32_e32 v11, 0xbf5db3d7, v36
	v_dual_fmac_f32 v24, 0x3f5db3d7, v45 :: v_dual_fmamk_f32 v23, v40, 0x3f5db3d7, v25
	v_fmac_f32_e32 v25, 0xbf5db3d7, v40
	ds_store_b64 v109, v[14:15] offset:7776
	ds_store_b64 v109, v[4:5] offset:15552
	ds_store_2addr_b64 v109, v[2:3], v[6:7] offset1:243
	ds_store_2addr_b64 v130, v[16:17], v[18:19] offset0:7 offset1:250
	ds_store_2addr_b64 v129, v[20:21], v[10:11] offset0:11 offset1:254
	;; [unrolled: 1-line block ×3, first 2 shown]
	ds_store_b64 v109, v[22:23] offset:13608
	ds_store_b64 v109, v[24:25] offset:21384
	global_wb scope:SCOPE_SE
	s_wait_dscnt 0x0
	s_barrier_signal -1
	s_barrier_wait -1
	global_inv scope:SCOPE_SE
	ds_load_2addr_b64 v[2:5], v109 offset1:243
	ds_load_2addr_b64 v[6:9], v115 offset0:6 offset1:249
	ds_load_2addr_b64 v[10:13], v114 offset0:12 offset1:255
	;; [unrolled: 1-line block ×5, first 2 shown]
	v_lshlrev_b64_e32 v[0:1], 3, v[0:1]
	v_lshlrev_b64_e32 v[26:27], 3, v[26:27]
	s_delay_alu instid0(VALU_DEP_2) | instskip(SKIP_1) | instid1(VALU_DEP_3)
	v_add_co_u32 v0, vcc_lo, s0, v0
	s_wait_alu 0xfffd
	v_add_co_ci_u32_e32 v1, vcc_lo, s1, v1, vcc_lo
	s_mul_u64 s[0:1], s[4:5], 0xf30
	s_delay_alu instid0(VALU_DEP_2) | instskip(SKIP_1) | instid1(VALU_DEP_2)
	v_add_co_u32 v0, vcc_lo, v0, v26
	s_wait_alu 0xfffd
	v_add_co_ci_u32_e32 v1, vcc_lo, v1, v27, vcc_lo
	s_wait_dscnt 0x5
	v_mul_f32_e32 v26, v81, v3
	s_wait_dscnt 0x4
	v_mul_f32_e32 v28, v83, v7
	;; [unrolled: 2-line block ×3, first 2 shown]
	v_mul_f32_e32 v27, v81, v2
	s_wait_dscnt 0x0
	v_dual_mul_f32 v48, v101, v25 :: v_dual_mul_f32 v29, v83, v6
	v_mul_f32_e32 v30, v87, v11
	v_dual_mul_f32 v31, v87, v10 :: v_dual_mul_f32 v32, v85, v15
	s_delay_alu instid0(VALU_DEP_3)
	v_dual_fmac_f32 v48, v100, v24 :: v_dual_mul_f32 v33, v85, v14
	v_mul_f32_e32 v34, v89, v19
	v_dual_mul_f32 v35, v89, v18 :: v_dual_mul_f32 v36, v91, v23
	v_dual_mul_f32 v37, v91, v22 :: v_dual_mul_f32 v38, v97, v5
	v_dual_mul_f32 v39, v97, v4 :: v_dual_fmac_f32 v26, v80, v2
	v_fmac_f32_e32 v44, v92, v16
	v_fma_f32 v27, v80, v3, -v27
	v_mul_f32_e32 v40, v95, v9
	v_dual_mul_f32 v41, v95, v8 :: v_dual_fmac_f32 v28, v82, v6
	v_fma_f32 v29, v82, v7, -v29
	v_mul_f32_e32 v42, v99, v13
	v_dual_mul_f32 v43, v99, v12 :: v_dual_fmac_f32 v30, v86, v10
	v_fma_f32 v31, v86, v11, -v31
	v_dual_mul_f32 v45, v93, v16 :: v_dual_fmac_f32 v32, v84, v14
	v_fma_f32 v33, v84, v15, -v33
	v_mul_f32_e32 v46, v103, v21
	v_dual_mul_f32 v47, v103, v20 :: v_dual_fmac_f32 v34, v88, v18
	v_fma_f32 v35, v88, v19, -v35
	v_dual_mul_f32 v49, v101, v24 :: v_dual_fmac_f32 v36, v90, v22
	v_fma_f32 v37, v90, v23, -v37
	v_fmac_f32_e32 v38, v96, v4
	v_fma_f32 v39, v96, v5, -v39
	v_cvt_f64_f32_e32 v[2:3], v26
	v_cvt_f64_f32_e32 v[4:5], v27
	v_fmac_f32_e32 v40, v94, v8
	v_fma_f32 v41, v94, v9, -v41
	v_cvt_f64_f32_e32 v[6:7], v28
	v_cvt_f64_f32_e32 v[8:9], v29
	;; [unrolled: 4-line block ×3, first 2 shown]
	v_fma_f32 v45, v92, v17, -v45
	v_cvt_f64_f32_e32 v[14:15], v32
	v_cvt_f64_f32_e32 v[16:17], v33
	v_fmac_f32_e32 v46, v102, v20
	v_fma_f32 v47, v102, v21, -v47
	v_cvt_f64_f32_e32 v[18:19], v34
	v_cvt_f64_f32_e32 v[20:21], v35
	v_fma_f32 v49, v100, v25, -v49
	v_cvt_f64_f32_e32 v[22:23], v36
	v_cvt_f64_f32_e32 v[24:25], v37
	;; [unrolled: 1-line block ×14, first 2 shown]
	s_wait_alu 0xfffe
	v_add_co_u32 v50, vcc_lo, v0, s0
	s_wait_alu 0xfffd
	v_add_co_ci_u32_e32 v51, vcc_lo, s1, v1, vcc_lo
	s_delay_alu instid0(VALU_DEP_2)
	v_add_co_u32 v52, vcc_lo, v50, s0
	v_mul_f64_e32 v[2:3], s[2:3], v[2:3]
	v_mul_f64_e32 v[4:5], s[2:3], v[4:5]
	s_wait_alu 0xfffd
	v_add_co_ci_u32_e32 v53, vcc_lo, s1, v51, vcc_lo
	v_mul_f64_e32 v[6:7], s[2:3], v[6:7]
	v_mul_f64_e32 v[8:9], s[2:3], v[8:9]
	v_add_co_u32 v54, vcc_lo, v52, s0
	v_mul_f64_e32 v[10:11], s[2:3], v[10:11]
	v_mul_f64_e32 v[12:13], s[2:3], v[12:13]
	;; [unrolled: 1-line block ×4, first 2 shown]
	s_wait_alu 0xfffd
	v_add_co_ci_u32_e32 v55, vcc_lo, s1, v53, vcc_lo
	v_mul_f64_e32 v[18:19], s[2:3], v[18:19]
	v_mul_f64_e32 v[20:21], s[2:3], v[20:21]
	v_add_co_u32 v56, vcc_lo, v54, s0
	v_mul_f64_e32 v[22:23], s[2:3], v[22:23]
	v_mul_f64_e32 v[24:25], s[2:3], v[24:25]
	;; [unrolled: 1-line block ×14, first 2 shown]
	s_wait_alu 0xfffd
	v_add_co_ci_u32_e32 v57, vcc_lo, s1, v55, vcc_lo
	v_add_co_u32 v58, vcc_lo, v56, s0
	s_mul_i32 s2, s5, 0xffffbba8
	s_wait_alu 0xfffd
	s_delay_alu instid0(VALU_DEP_2)
	v_add_co_ci_u32_e32 v59, vcc_lo, s1, v57, vcc_lo
	v_cvt_f32_f64_e32 v2, v[2:3]
	v_cvt_f32_f64_e32 v3, v[4:5]
	s_wait_alu 0xfffe
	s_sub_co_i32 s2, s2, s4
	v_cvt_f32_f64_e32 v4, v[6:7]
	v_cvt_f32_f64_e32 v5, v[8:9]
	v_mad_co_u64_u32 v[60:61], null, 0xffffbba8, s4, v[58:59]
	v_cvt_f32_f64_e32 v6, v[10:11]
	v_cvt_f32_f64_e32 v7, v[12:13]
	;; [unrolled: 1-line block ×6, first 2 shown]
	s_wait_alu 0xfffe
	v_add_nc_u32_e32 v61, s2, v61
	v_cvt_f32_f64_e32 v12, v[22:23]
	v_cvt_f32_f64_e32 v13, v[24:25]
	;; [unrolled: 1-line block ×14, first 2 shown]
	v_add_co_u32 v26, vcc_lo, v60, s0
	s_wait_alu 0xfffd
	v_add_co_ci_u32_e32 v27, vcc_lo, s1, v61, vcc_lo
	s_delay_alu instid0(VALU_DEP_2) | instskip(SKIP_1) | instid1(VALU_DEP_2)
	v_add_co_u32 v28, vcc_lo, v26, s0
	s_wait_alu 0xfffd
	v_add_co_ci_u32_e32 v29, vcc_lo, s1, v27, vcc_lo
	s_delay_alu instid0(VALU_DEP_2) | instskip(SKIP_1) | instid1(VALU_DEP_2)
	;; [unrolled: 4-line block ×4, first 2 shown]
	v_add_co_u32 v34, vcc_lo, v32, s0
	s_wait_alu 0xfffd
	v_add_co_ci_u32_e32 v35, vcc_lo, s1, v33, vcc_lo
	s_clause 0x4
	global_store_b64 v[0:1], v[2:3], off
	global_store_b64 v[50:51], v[4:5], off
	;; [unrolled: 1-line block ×12, first 2 shown]
.LBB0_2:
	s_nop 0
	s_sendmsg sendmsg(MSG_DEALLOC_VGPRS)
	s_endpgm
	.section	.rodata,"a",@progbits
	.p2align	6, 0x0
	.amdhsa_kernel bluestein_single_back_len2916_dim1_sp_op_CI_CI
		.amdhsa_group_segment_fixed_size 23328
		.amdhsa_private_segment_fixed_size 0
		.amdhsa_kernarg_size 104
		.amdhsa_user_sgpr_count 2
		.amdhsa_user_sgpr_dispatch_ptr 0
		.amdhsa_user_sgpr_queue_ptr 0
		.amdhsa_user_sgpr_kernarg_segment_ptr 1
		.amdhsa_user_sgpr_dispatch_id 0
		.amdhsa_user_sgpr_private_segment_size 0
		.amdhsa_wavefront_size32 1
		.amdhsa_uses_dynamic_stack 0
		.amdhsa_enable_private_segment 0
		.amdhsa_system_sgpr_workgroup_id_x 1
		.amdhsa_system_sgpr_workgroup_id_y 0
		.amdhsa_system_sgpr_workgroup_id_z 0
		.amdhsa_system_sgpr_workgroup_info 0
		.amdhsa_system_vgpr_workitem_id 0
		.amdhsa_next_free_vgpr 169
		.amdhsa_next_free_sgpr 20
		.amdhsa_reserve_vcc 1
		.amdhsa_float_round_mode_32 0
		.amdhsa_float_round_mode_16_64 0
		.amdhsa_float_denorm_mode_32 3
		.amdhsa_float_denorm_mode_16_64 3
		.amdhsa_fp16_overflow 0
		.amdhsa_workgroup_processor_mode 1
		.amdhsa_memory_ordered 1
		.amdhsa_forward_progress 0
		.amdhsa_round_robin_scheduling 0
		.amdhsa_exception_fp_ieee_invalid_op 0
		.amdhsa_exception_fp_denorm_src 0
		.amdhsa_exception_fp_ieee_div_zero 0
		.amdhsa_exception_fp_ieee_overflow 0
		.amdhsa_exception_fp_ieee_underflow 0
		.amdhsa_exception_fp_ieee_inexact 0
		.amdhsa_exception_int_div_zero 0
	.end_amdhsa_kernel
	.text
.Lfunc_end0:
	.size	bluestein_single_back_len2916_dim1_sp_op_CI_CI, .Lfunc_end0-bluestein_single_back_len2916_dim1_sp_op_CI_CI
                                        ; -- End function
	.section	.AMDGPU.csdata,"",@progbits
; Kernel info:
; codeLenInByte = 13200
; NumSgprs: 22
; NumVgprs: 169
; ScratchSize: 0
; MemoryBound: 0
; FloatMode: 240
; IeeeMode: 1
; LDSByteSize: 23328 bytes/workgroup (compile time only)
; SGPRBlocks: 2
; VGPRBlocks: 21
; NumSGPRsForWavesPerEU: 22
; NumVGPRsForWavesPerEU: 169
; Occupancy: 8
; WaveLimiterHint : 1
; COMPUTE_PGM_RSRC2:SCRATCH_EN: 0
; COMPUTE_PGM_RSRC2:USER_SGPR: 2
; COMPUTE_PGM_RSRC2:TRAP_HANDLER: 0
; COMPUTE_PGM_RSRC2:TGID_X_EN: 1
; COMPUTE_PGM_RSRC2:TGID_Y_EN: 0
; COMPUTE_PGM_RSRC2:TGID_Z_EN: 0
; COMPUTE_PGM_RSRC2:TIDIG_COMP_CNT: 0
	.text
	.p2alignl 7, 3214868480
	.fill 96, 4, 3214868480
	.type	__hip_cuid_991b8e960bde65c5,@object ; @__hip_cuid_991b8e960bde65c5
	.section	.bss,"aw",@nobits
	.globl	__hip_cuid_991b8e960bde65c5
__hip_cuid_991b8e960bde65c5:
	.byte	0                               ; 0x0
	.size	__hip_cuid_991b8e960bde65c5, 1

	.ident	"AMD clang version 19.0.0git (https://github.com/RadeonOpenCompute/llvm-project roc-6.4.0 25133 c7fe45cf4b819c5991fe208aaa96edf142730f1d)"
	.section	".note.GNU-stack","",@progbits
	.addrsig
	.addrsig_sym __hip_cuid_991b8e960bde65c5
	.amdgpu_metadata
---
amdhsa.kernels:
  - .args:
      - .actual_access:  read_only
        .address_space:  global
        .offset:         0
        .size:           8
        .value_kind:     global_buffer
      - .actual_access:  read_only
        .address_space:  global
        .offset:         8
        .size:           8
        .value_kind:     global_buffer
      - .actual_access:  read_only
        .address_space:  global
        .offset:         16
        .size:           8
        .value_kind:     global_buffer
      - .actual_access:  read_only
        .address_space:  global
        .offset:         24
        .size:           8
        .value_kind:     global_buffer
      - .actual_access:  read_only
        .address_space:  global
        .offset:         32
        .size:           8
        .value_kind:     global_buffer
      - .offset:         40
        .size:           8
        .value_kind:     by_value
      - .address_space:  global
        .offset:         48
        .size:           8
        .value_kind:     global_buffer
      - .address_space:  global
        .offset:         56
        .size:           8
        .value_kind:     global_buffer
      - .address_space:  global
        .offset:         64
        .size:           8
        .value_kind:     global_buffer
      - .address_space:  global
        .offset:         72
        .size:           8
        .value_kind:     global_buffer
      - .offset:         80
        .size:           4
        .value_kind:     by_value
      - .address_space:  global
        .offset:         88
        .size:           8
        .value_kind:     global_buffer
      - .address_space:  global
        .offset:         96
        .size:           8
        .value_kind:     global_buffer
    .group_segment_fixed_size: 23328
    .kernarg_segment_align: 8
    .kernarg_segment_size: 104
    .language:       OpenCL C
    .language_version:
      - 2
      - 0
    .max_flat_workgroup_size: 243
    .name:           bluestein_single_back_len2916_dim1_sp_op_CI_CI
    .private_segment_fixed_size: 0
    .sgpr_count:     22
    .sgpr_spill_count: 0
    .symbol:         bluestein_single_back_len2916_dim1_sp_op_CI_CI.kd
    .uniform_work_group_size: 1
    .uses_dynamic_stack: false
    .vgpr_count:     169
    .vgpr_spill_count: 0
    .wavefront_size: 32
    .workgroup_processor_mode: 1
amdhsa.target:   amdgcn-amd-amdhsa--gfx1201
amdhsa.version:
  - 1
  - 2
...

	.end_amdgpu_metadata
